;; amdgpu-corpus repo=ROCm/aiter kind=harvested arch=n/a opt=n/a

/root/src/amdgpu-assembly/repos/ROCm__aiter/hsa/gfx950/f4gemm/f4gemm_bf16_per1x32Fp4_BpreShuffle_32x896.co:	file format elf64-amdgpu

Disassembly of section .text:

0000000000002c00 <_ZN5aiter41f4gemm_bf16_per1x32Fp4_BpreShuffle_32x896E>:
	s_and_b32 s1, s1, 0xffff                                   // 000000002C00: 8601FF01 0000FFFF
	s_load_dwordx2 s[4:5], s[0:1], 0x0                         // 000000002C08: C0060100 00000000
	s_load_dwordx2 s[8:9], s[0:1], 0x10                        // 000000002C10: C0060200 00000010
	s_load_dwordx2 s[12:13], s[0:1], 0x20                      // 000000002C18: C0060300 00000020
	s_load_dwordx2 s[16:17], s[0:1], 0x30                      // 000000002C20: C0060400 00000030
	s_load_dword s41, s[0:1], 0x40                             // 000000002C28: C0020A40 00000040
	s_load_dword s42, s[0:1], 0x50                             // 000000002C30: C0020A80 00000050
	s_load_dword s36, s[0:1], 0x80                             // 000000002C38: C0020900 00000080
	s_load_dword s37, s[0:1], 0xa0                             // 000000002C40: C0020940 000000A0
	s_load_dword s38, s[0:1], 0xc0                             // 000000002C48: C0020980 000000C0
	s_load_dword s43, s[0:1], 0xe0                             // 000000002C50: C0020AC0 000000E0
	s_load_dword s44, s[0:1], 0xf0                             // 000000002C58: C0020B00 000000F0
	s_load_dword s45, s[0:1], 0x100                            // 000000002C60: C0020B40 00000100
	s_load_dwordx2 s[20:21], s[0:1], 0x110                     // 000000002C68: C0060500 00000110
	s_load_dwordx2 s[24:25], s[0:1], 0x120                     // 000000002C70: C0060600 00000120
	s_load_dword s39, s[0:1], 0x130                            // 000000002C78: C00209C0 00000130
	s_load_dword s40, s[0:1], 0x150                            // 000000002C80: C0020A00 00000150
	v_lshrrev_b32_e32 v1, 10, v0                               // 000000002C88: 2002008A
	v_lshrrev_b32_e32 v2, 10, v1                               // 000000002C8C: 2004028A
	v_and_b32_e32 v2, 0x3ff, v2                                // 000000002C90: 260404FF 000003FF
	v_and_b32_e32 v1, 0x3ff, v1                                // 000000002C98: 260202FF 000003FF
	v_and_b32_e32 v0, 0x3ff, v0                                // 000000002CA0: 260000FF 000003FF
	v_lshrrev_b32_e32 v3, 6, v0                                // 000000002CA8: 20060086
	v_and_b32_e32 v0, 63, v0                                   // 000000002CAC: 260000BF
	s_mov_b32 s47, s2                                          // 000000002CB0: BEAF0002
	s_mov_b32 s48, s3                                          // 000000002CB4: BEB00003
	v_readfirstlane_b32 s46, v3                                // 000000002CB8: 7E5C0503
	s_waitcnt lgkmcnt(0)                                       // 000000002CBC: BF8CC07F
	s_add_u32 s51, s44, 0x37f                                  // 000000002CC0: 8033FF2C 0000037F
	s_mov_b32 s63, 0x380                                       // 000000002CC8: BEBF00FF 00000380
	v_cvt_f32_u32_e32 v4, s63                                  // 000000002CD0: 7E080C3F
	s_sub_i32 s50, 0, s63                                      // 000000002CD4: 81B23F80
	v_rcp_iflag_f32_e32 v4, v4                                 // 000000002CD8: 7E084704
	s_nop 0                                                    // 000000002CDC: BF800000
	v_mul_f32_e32 v4, 0x4f7ffffe, v4                           // 000000002CE0: 0A0808FF 4F7FFFFE
	v_cvt_u32_f32_e32 v4, v4                                   // 000000002CE8: 7E080F04
	v_mul_lo_u32 v5, s50, v4                                   // 000000002CEC: D2850005 00020832
	v_mul_hi_u32 v5, v4, v5                                    // 000000002CF4: D2860005 00020B04
	v_add_u32_e32 v4, v4, v5                                   // 000000002CFC: 68080B04
	v_mul_hi_u32 v4, s51, v4                                   // 000000002D00: D2860004 00020833
	v_mul_lo_u32 v5, v4, s63                                   // 000000002D08: D2850005 00007F04
	v_sub_u32_e32 v7, s51, v5                                  // 000000002D10: 6A0E0A33
	v_add_u32_e32 v6, 1, v4                                    // 000000002D14: 680C0881
	v_cmp_le_u32_e32 vcc, s63, v7                              // 000000002D18: 7D960E3F
	v_subrev_u32_e32 v5, s63, v7                               // 000000002D1C: 6C0A0E3F
	s_nop 0                                                    // 000000002D20: BF800000
	v_cndmask_b32_e32 v4, v4, v6, vcc                          // 000000002D24: 00080D04
	v_cndmask_b32_e32 v7, v7, v5, vcc                          // 000000002D28: 000E0B07
	v_add_u32_e32 v5, 1, v4                                    // 000000002D2C: 680A0881
	v_cmp_le_u32_e32 vcc, s63, v7                              // 000000002D30: 7D960E3F
	s_nop 1                                                    // 000000002D34: BF800001
	v_cndmask_b32_e32 v7, v4, v5, vcc                          // 000000002D38: 000E0B04
	s_nop 3                                                    // 000000002D3C: BF800003
	v_readfirstlane_b32 s50, v7                                // 000000002D40: 7E640507
	s_nop 3                                                    // 000000002D44: BF800003
	s_mul_i32 s49, s50, s48                                    // 000000002D48: 92313032
	s_add_i32 s49, s49, s47                                    // 000000002D4C: 81312F31
	s_add_u32 s51, s43, 31                                     // 000000002D50: 80339F2B
	s_lshr_b32 s62, s51, 5                                     // 000000002D54: 8F3E8533
	s_lshl_b32 s62, s62, 5                                     // 000000002D58: 8E3E853E
	s_mov_b32 s47, 0                                           // 000000002D5C: BEAF0080

0000000000002d60 <label_0058>:
	s_cmp_lt_i32 s49, s62                                      // 000000002D60: BF043E31
	s_cbranch_scc1 label_005D                                  // 000000002D64: BF850003
	s_sub_i32 s49, s49, s62                                    // 000000002D68: 81B13E31
	s_add_i32 s47, s47, 32                                     // 000000002D6C: 812FA02F
	s_branch label_0058                                        // 000000002D70: BF82FFFB

0000000000002d74 <label_005D>:
	s_sub_i32 s50, s50, s47                                    // 000000002D74: 81B22F32
	s_cmp_lt_i32 s50, 32                                       // 000000002D78: BF04A032
	s_cbranch_scc1 label_0063                                  // 000000002D7C: BF850003
	s_lshr_b32 s48, s49, 5                                     // 000000002D80: 8F308531
	s_and_b32 s62, s49, 31                                     // 000000002D84: 863E9F31
	s_branch label_0083                                        // 000000002D88: BF820020

0000000000002d8c <label_0063>:
	v_cvt_f32_u32_e32 v4, s50                                  // 000000002D8C: 7E080C32
	s_sub_i32 s48, 0, s50                                      // 000000002D90: 81B03280
	v_rcp_iflag_f32_e32 v4, v4                                 // 000000002D94: 7E084704
	s_nop 0                                                    // 000000002D98: BF800000
	v_mul_f32_e32 v4, 0x4f7ffffe, v4                           // 000000002D9C: 0A0808FF 4F7FFFFE
	v_cvt_u32_f32_e32 v4, v4                                   // 000000002DA4: 7E080F04
	v_mul_lo_u32 v5, s48, v4                                   // 000000002DA8: D2850005 00020830
	v_mul_hi_u32 v5, v4, v5                                    // 000000002DB0: D2860005 00020B04
	v_add_u32_e32 v4, v4, v5                                   // 000000002DB8: 68080B04
	v_mul_hi_u32 v4, s49, v4                                   // 000000002DBC: D2860004 00020831
	v_mul_lo_u32 v5, v4, s50                                   // 000000002DC4: D2850005 00006504
	v_sub_u32_e32 v7, s49, v5                                  // 000000002DCC: 6A0E0A31
	v_add_u32_e32 v6, 1, v4                                    // 000000002DD0: 680C0881
	v_cmp_le_u32_e32 vcc, s50, v7                              // 000000002DD4: 7D960E32
	v_subrev_u32_e32 v5, s50, v7                               // 000000002DD8: 6C0A0E32
	s_nop 0                                                    // 000000002DDC: BF800000
	v_cndmask_b32_e32 v4, v4, v6, vcc                          // 000000002DE0: 00080D04
	v_cndmask_b32_e32 v7, v7, v5, vcc                          // 000000002DE4: 000E0B07
	v_add_u32_e32 v5, 1, v4                                    // 000000002DE8: 680A0881
	v_cmp_le_u32_e32 vcc, s50, v7                              // 000000002DEC: 7D960E32
	s_nop 1                                                    // 000000002DF0: BF800001
	v_cndmask_b32_e32 v7, v4, v5, vcc                          // 000000002DF4: 000E0B04
	s_nop 3                                                    // 000000002DF8: BF800003
	v_readfirstlane_b32 s48, v7                                // 000000002DFC: 7E600507
	s_nop 3                                                    // 000000002E00: BF800003
	s_mul_i32 s62, s50, s48                                    // 000000002E04: 923E3032
	s_sub_i32 s62, s49, s62                                    // 000000002E08: 81BE3E31

0000000000002e0c <label_0083>:
	s_add_i32 s47, s62, s47                                    // 000000002E0C: 812F2F3E
	s_lshr_b32 s37, s37, 1                                     // 000000002E10: 8F258125
	s_mul_i32 s62, s48, 32                                     // 000000002E14: 923EA030
	s_mul_hi_u32 s63, s37, s62                                 // 000000002E18: 963F3E25
	s_add_u32 s13, s13, s63                                    // 000000002E1C: 800D3F0D
	s_mul_i32 s63, s37, s62                                    // 000000002E20: 923F3E25
	s_add_u32 s12, s12, s63                                    // 000000002E24: 800C3F0C
	s_addc_u32 s13, s13, 0                                     // 000000002E28: 820D800D
	s_sub_i32 s63, s43, s62                                    // 000000002E2C: 81BF3E2B
	s_cmp_lt_u32 s63, 32                                       // 000000002E30: BF0AA03F
	s_cselect_b32 s62, s63, 32                                 // 000000002E34: 853EA03F
	s_mul_i32 s14, s37, s62                                    // 000000002E38: 920E3E25
	s_mov_b32 s15, 0x20000                                     // 000000002E3C: BE8F00FF 00020000
	v_lshrrev_b32_e32 v4, 3, v0                                // 000000002E44: 20080083
	v_lshrrev_b32_e32 v5, 2, v4                                // 000000002E48: 200A0882
	v_lshlrev_b32_e32 v5, 4, v5                                // 000000002E4C: 240A0A84
	v_and_b32_e32 v4, 3, v4                                    // 000000002E50: 26080883
	v_lshrrev_b32_e32 v6, 1, v4                                // 000000002E54: 200C0881
	v_lshlrev_b32_e32 v6, 2, v6                                // 000000002E58: 240C0C82
	v_add_u32_e32 v5, v5, v6                                   // 000000002E5C: 680A0D05
	v_and_b32_e32 v4, 1, v4                                    // 000000002E60: 26080881
	v_add_u32_e32 v5, v5, v4                                   // 000000002E64: 680A0905
	v_mul_lo_u32 v195, s37, v5                                 // 000000002E68: D28500C3 00020A25
	v_and_b32_e32 v4, 7, v0                                    // 000000002E70: 26080087
	v_lshlrev_b32_e32 v4, 4, v4                                // 000000002E74: 24080884
	v_add_u32_e32 v195, v4, v195                               // 000000002E78: 69878704
	s_lshr_b32 s62, s46, 1                                     // 000000002E7C: 8F3E812E
	s_mul_i32 s62, s62, 8                                      // 000000002E80: 923E883E
	s_and_b32 s63, s46, 1                                      // 000000002E84: 863F812E
	s_mul_i32 s63, s63, 2                                      // 000000002E88: 923F823F
	s_add_u32 s62, s62, s63                                    // 000000002E8C: 803E3F3E
	s_mul_i32 s62, s37, s62                                    // 000000002E90: 923E3E25
	v_add_u32_e32 v195, s62, v195                              // 000000002E94: 6987863E
	s_mul_i32 s64, 0x420, s46                                  // 000000002E98: 92402EFF 00000420
	s_add_u32 s64, 0x1000, s64                                 // 000000002EA0: 804040FF 00001000
	v_and_b32_e32 v4, 15, v0                                   // 000000002EA8: 2608008F
	v_lshrrev_b32_e32 v5, 3, v4                                // 000000002EAC: 200A0883
	v_mul_i32_i24_e32 v5, 2, v5                                // 000000002EB0: 0C0A0A82
	v_and_b32_e32 v4, 3, v0                                    // 000000002EB4: 26080083
	v_lshrrev_b32_e32 v6, 1, v4                                // 000000002EB8: 200C0881
	v_add_u32_e32 v4, v5, v6                                   // 000000002EBC: 68080D05
	v_mul_i32_i24_e32 v196, 0x420, v4                          // 000000002EC0: 0D8808FF 00000420
	v_and_b32_e32 v4, 7, v0                                    // 000000002EC8: 26080087
	v_lshrrev_b32_e32 v5, 2, v4                                // 000000002ECC: 200A0882
	v_mul_i32_i24_e32 v5, 0x100, v5                            // 000000002ED0: 0C0A0AFF 00000100
	v_add_u32_e32 v196, v5, v196                               // 000000002ED8: 69898905
	v_and_b32_e32 v4, 1, v0                                    // 000000002EDC: 26080081
	v_mul_i32_i24_e32 v6, 0x80, v4                             // 000000002EE0: 0C0C08FF 00000080
	v_add_u32_e32 v196, v6, v196                               // 000000002EE8: 69898906
	v_lshrrev_b32_e32 v4, 4, v0                                // 000000002EEC: 20080084
	v_mul_i32_i24_e32 v4, 16, v4                               // 000000002EF0: 0C080890
	v_add_u32_e32 v196, v4, v196                               // 000000002EF4: 69898904
	v_add_u32_e32 v196, 0x1000, v196                           // 000000002EF8: 698988FF 00001000
	v_add_u32_e32 v197, 0x1080, v196                           // 000000002F00: 698B88FF 00001080
	v_add_u32_e32 v198, 0x1080, v197                           // 000000002F08: 698D8AFF 00001080
	v_add_u32_e32 v199, 0x1080, v198                           // 000000002F10: 698F8CFF 00001080
	s_mul_i32 s62, s48, 32                                     // 000000002F18: 923EA030
	s_mul_hi_u32 s63, s39, s62                                 // 000000002F1C: 963F3E27
	s_add_u32 s21, s21, s63                                    // 000000002F20: 80153F15
	s_mul_i32 s63, s39, s62                                    // 000000002F24: 923F3E27
	s_add_u32 s20, s20, s63                                    // 000000002F28: 80143F14
	s_addc_u32 s21, s21, 0                                     // 000000002F2C: 82158015
	s_add_u32 s63, s43, 31                                     // 000000002F30: 803F9F2B
	s_lshr_b32 s63, s63, 5                                     // 000000002F34: 8F3F853F
	s_lshl_b32 s63, s63, 5                                     // 000000002F38: 8E3F853F
	s_sub_i32 s63, s63, s62                                    // 000000002F3C: 81BF3E3F
	s_cmp_lt_u32 s63, 32                                       // 000000002F40: BF0AA03F
	s_cselect_b32 s62, s63, 32                                 // 000000002F44: 853EA03F
	s_mul_i32 s22, s39, s62                                    // 000000002F48: 92163E27
	s_mov_b32 s23, 0x20000                                     // 000000002F4C: BE9700FF 00020000
	v_lshlrev_b32_e32 v200, 2, v0                              // 000000002F54: 25900082
	s_mul_i32 s63, s46, 32                                     // 000000002F58: 923FA02E
	s_mul_i32 s63, s63, s39                                    // 000000002F5C: 923F273F
	v_add_u32_e32 v200, s63, v200                              // 000000002F60: 6991903F
	s_mul_i32 s65, s46, 0x100                                  // 000000002F64: 9241FF2E 00000100
	s_add_i32 s65, s65, 0                                      // 000000002F6C: 81418041
	v_lshlrev_b32_e32 v201, 2, v0                              // 000000002F70: 25920082
	v_add_u32_e32 v201, 0, v201                                // 000000002F74: 69939280
	s_lshr_b32 s38, s38, 1                                     // 000000002F78: 8F268126
	s_mul_i32 s62, s47, 0x380                                  // 000000002F7C: 923EFF2F 00000380
	s_mul_hi_u32 s63, s38, s62                                 // 000000002F84: 963F3E26
	s_add_u32 s17, s17, s63                                    // 000000002F88: 80113F11
	s_mul_i32 s63, s38, s62                                    // 000000002F8C: 923F3E26
	s_add_u32 s16, s16, s63                                    // 000000002F90: 80103F10
	s_addc_u32 s17, s17, 0                                     // 000000002F94: 82118011
	s_sub_i32 s63, s44, s62                                    // 000000002F98: 81BF3E2C
	s_cmp_lt_u32 s63, 0x380                                    // 000000002F9C: BF0AFF3F 00000380
	s_cselect_b32 s62, s63, 0x380                              // 000000002FA4: 853EFF3F 00000380
	s_mul_i32 s18, s38, s62                                    // 000000002FAC: 92123E26
	s_mov_b32 s19, 0x20000                                     // 000000002FB0: BE9300FF 00020000
	v_lshlrev_b32_e32 v202, 4, v0                              // 000000002FB8: 25940084
	s_mul_i32 s63, s46, 0xe0                                   // 000000002FBC: 923FFF2E 000000E0
	s_mul_i32 s62, s63, s38                                    // 000000002FC4: 923E263F
	v_add_u32_e32 v202, s62, v202                              // 000000002FC8: 6995943E
	s_mul_i32 s62, 16, s38                                     // 000000002FCC: 923E2690
	v_add_u32_e32 v203, s62, v202                              // 000000002FD0: 6997943E
	v_add_u32_e32 v204, s62, v203                              // 000000002FD4: 6999963E
	v_add_u32_e32 v205, s62, v204                              // 000000002FD8: 699B983E
	v_add_u32_e32 v206, s62, v205                              // 000000002FDC: 699D9A3E
	v_add_u32_e32 v207, s62, v206                              // 000000002FE0: 699F9C3E
	v_add_u32_e32 v208, s62, v207                              // 000000002FE4: 69A19E3E
	v_add_u32_e32 v209, s62, v208                              // 000000002FE8: 69A3A03E
	v_add_u32_e32 v210, s62, v209                              // 000000002FEC: 69A5A23E
	v_add_u32_e32 v211, s62, v210                              // 000000002FF0: 69A7A43E
	v_add_u32_e32 v212, s62, v211                              // 000000002FF4: 69A9A63E
	v_add_u32_e32 v213, s62, v212                              // 000000002FF8: 69ABA83E
	v_add_u32_e32 v214, s62, v213                              // 000000002FFC: 69ADAA3E
	v_add_u32_e32 v215, s62, v214                              // 000000003000: 69AFAC3E
	s_mul_i32 s62, s47, 0x380                                  // 000000003004: 923EFF2F 00000380
	s_mul_hi_u32 s63, s40, s62                                 // 00000000300C: 963F3E28
	s_add_u32 s25, s25, s63                                    // 000000003010: 80193F19
	s_mul_i32 s63, s40, s62                                    // 000000003014: 923F3E28
	s_add_u32 s24, s24, s63                                    // 000000003018: 80183F18
	s_addc_u32 s25, s25, 0                                     // 00000000301C: 82198019
	s_sub_i32 s63, s44, s62                                    // 000000003020: 81BF3E2C
	s_cmp_lt_u32 s63, 0x380                                    // 000000003024: BF0AFF3F 00000380
	s_cselect_b32 s62, s63, 0x380                              // 00000000302C: 853EFF3F 00000380
	s_mul_i32 s26, s40, s62                                    // 000000003034: 921A3E28
	s_mov_b32 s27, 0x20000                                     // 000000003038: BE9B00FF 00020000
	v_lshlrev_b32_e32 v216, 2, v0                              // 000000003040: 25B00082
	s_mul_i32 s63, s46, 0xe0                                   // 000000003044: 923FFF2E 000000E0
	s_mul_i32 s63, s63, s40                                    // 00000000304C: 923F283F
	v_add_u32_e32 v216, s63, v216                              // 000000003050: 69B1B03F
	s_mul_i32 s62, 32, s40                                     // 000000003054: 923E28A0
	v_add_u32_e32 v217, s62, v216                              // 000000003058: 69B3B03E
	v_add_u32_e32 v218, s62, v217                              // 00000000305C: 69B5B23E
	v_add_u32_e32 v219, s62, v218                              // 000000003060: 69B7B43E
	v_add_u32_e32 v220, s62, v219                              // 000000003064: 69B9B63E
	v_add_u32_e32 v221, s62, v220                              // 000000003068: 69BBB83E
	v_add_u32_e32 v222, s62, v221                              // 00000000306C: 69BDBA3E
	s_mov_b32 s66, 0x80                                        // 000000003070: BEC200FF 00000080
	s_mov_b32 s67, 0x800                                       // 000000003078: BEC300FF 00000800
	s_mov_b32 s68, 0x100                                       // 000000003080: BEC400FF 00000100
	s_mov_b32 s69, 0x100                                       // 000000003088: BEC500FF 00000100
	s_mov_b32 s60, 0                                           // 000000003090: BEBC0080
	s_mov_b32 s61, s45                                         // 000000003094: BEBD002D
	s_add_u32 m0, 0, s65                                       // 000000003098: 807C4180
	buffer_load_dword v200, s[20:23], 0 offen lds              // 00000000309C: E0511000 800500C8
	v_accvgpr_write_b32 a0, 0                                  // 0000000030A4: D3D94000 18000080
	v_accvgpr_write_b32 a1, 0                                  // 0000000030AC: D3D94001 18000080
	v_accvgpr_write_b32 a2, 0                                  // 0000000030B4: D3D94002 18000080
	v_accvgpr_write_b32 a3, 0                                  // 0000000030BC: D3D94003 18000080
	v_accvgpr_write_b32 a4, 0                                  // 0000000030C4: D3D94004 18000080
	v_accvgpr_write_b32 a5, 0                                  // 0000000030CC: D3D94005 18000080
	s_add_u32 m0, 0, s64                                       // 0000000030D4: 807C4080
	buffer_load_dwordx4 v195, s[12:15], 0 offen lds            // 0000000030D8: E05D1000 800300C3
	v_accvgpr_write_b32 a6, 0                                  // 0000000030E0: D3D94006 18000080
	v_accvgpr_write_b32 a7, 0                                  // 0000000030E8: D3D94007 18000080
	v_accvgpr_write_b32 a8, 0                                  // 0000000030F0: D3D94008 18000080
	v_accvgpr_write_b32 a9, 0                                  // 0000000030F8: D3D94009 18000080
	v_accvgpr_write_b32 a10, 0                                 // 000000003100: D3D9400A 18000080
	v_accvgpr_write_b32 a11, 0                                 // 000000003108: D3D9400B 18000080
	s_add_u32 s62, 0x100, s60                                  // 000000003110: 803E3CFF 00000100
	s_cmp_lt_u32 s62, s61                                      // 000000003118: BF0A3D3E
	s_cselect_b32 s66, s66, 0                                  // 00000000311C: 85428042
	s_cselect_b32 s68, s68, 0                                  // 000000003120: 85448044
	s_add_u32 s12, s12, s66                                    // 000000003124: 800C420C
	s_addc_u32 s13, 0, s13                                     // 000000003128: 820D0D80
	s_sub_u32 s14, s14, s66                                    // 00000000312C: 808E420E
	s_add_u32 s20, s20, s68                                    // 000000003130: 80144414
	s_addc_u32 s21, 0, s21                                     // 000000003134: 82151580
	s_sub_u32 s22, s22, s68                                    // 000000003138: 80964416
	s_add_u32 m0, 0x400, s65                                   // 00000000313C: 807C41FF 00000400
	buffer_load_dword v200, s[20:23], 0 offen lds              // 000000003144: E0511000 800500C8
	v_accvgpr_write_b32 a12, 0                                 // 00000000314C: D3D9400C 18000080
	v_accvgpr_write_b32 a13, 0                                 // 000000003154: D3D9400D 18000080
	v_accvgpr_write_b32 a14, 0                                 // 00000000315C: D3D9400E 18000080
	v_accvgpr_write_b32 a15, 0                                 // 000000003164: D3D9400F 18000080
	v_accvgpr_write_b32 a16, 0                                 // 00000000316C: D3D94010 18000080
	v_accvgpr_write_b32 a17, 0                                 // 000000003174: D3D94011 18000080
	s_add_u32 m0, 0x1080, s64                                  // 00000000317C: 807C40FF 00001080
	buffer_load_dwordx4 v195, s[12:15], 0 offen lds            // 000000003184: E05D1000 800300C3
	v_accvgpr_write_b32 a18, 0                                 // 00000000318C: D3D94012 18000080
	v_accvgpr_write_b32 a19, 0                                 // 000000003194: D3D94013 18000080
	v_accvgpr_write_b32 a20, 0                                 // 00000000319C: D3D94014 18000080
	v_accvgpr_write_b32 a21, 0                                 // 0000000031A4: D3D94015 18000080
	v_accvgpr_write_b32 a22, 0                                 // 0000000031AC: D3D94016 18000080
	v_accvgpr_write_b32 a23, 0                                 // 0000000031B4: D3D94017 18000080
	buffer_load_dwordx4 v[72:75], v202, s[16:19], 0 offen      // 0000000031BC: E05C1000 800448CA
	v_accvgpr_write_b32 a24, 0                                 // 0000000031C4: D3D94018 18000080
	v_accvgpr_write_b32 a25, 0                                 // 0000000031CC: D3D94019 18000080
	v_accvgpr_write_b32 a26, 0                                 // 0000000031D4: D3D9401A 18000080
	v_accvgpr_write_b32 a27, 0                                 // 0000000031DC: D3D9401B 18000080
	v_accvgpr_write_b32 a28, 0                                 // 0000000031E4: D3D9401C 18000080
	v_accvgpr_write_b32 a29, 0                                 // 0000000031EC: D3D9401D 18000080
	buffer_load_dwordx4 v[76:79], v203, s[16:19], 0 offen      // 0000000031F4: E05C1000 80044CCB
	v_accvgpr_write_b32 a30, 0                                 // 0000000031FC: D3D9401E 18000080
	v_accvgpr_write_b32 a31, 0                                 // 000000003204: D3D9401F 18000080
	v_accvgpr_write_b32 a32, 0                                 // 00000000320C: D3D94020 18000080
	v_accvgpr_write_b32 a33, 0                                 // 000000003214: D3D94021 18000080
	v_accvgpr_write_b32 a34, 0                                 // 00000000321C: D3D94022 18000080
	v_accvgpr_write_b32 a35, 0                                 // 000000003224: D3D94023 18000080
	buffer_load_dwordx4 v[80:83], v202, s[16:19], 0 offen offset:1024// 00000000322C: E05C1400 800450CA
	v_accvgpr_write_b32 a36, 0                                 // 000000003234: D3D94024 18000080
	v_accvgpr_write_b32 a37, 0                                 // 00000000323C: D3D94025 18000080
	v_accvgpr_write_b32 a38, 0                                 // 000000003244: D3D94026 18000080
	v_accvgpr_write_b32 a39, 0                                 // 00000000324C: D3D94027 18000080
	v_accvgpr_write_b32 a40, 0                                 // 000000003254: D3D94028 18000080
	v_accvgpr_write_b32 a41, 0                                 // 00000000325C: D3D94029 18000080
	buffer_load_dwordx4 v[84:87], v203, s[16:19], 0 offen offset:1024// 000000003264: E05C1400 800454CB
	v_accvgpr_write_b32 a42, 0                                 // 00000000326C: D3D9402A 18000080
	v_accvgpr_write_b32 a43, 0                                 // 000000003274: D3D9402B 18000080
	v_accvgpr_write_b32 a44, 0                                 // 00000000327C: D3D9402C 18000080
	v_accvgpr_write_b32 a45, 0                                 // 000000003284: D3D9402D 18000080
	v_accvgpr_write_b32 a46, 0                                 // 00000000328C: D3D9402E 18000080
	v_accvgpr_write_b32 a47, 0                                 // 000000003294: D3D9402F 18000080
	buffer_load_dword v188, v216, s[24:27], 0 offen            // 00000000329C: E0501000 8006BCD8
	v_accvgpr_write_b32 a48, 0                                 // 0000000032A4: D3D94030 18000080
	v_accvgpr_write_b32 a49, 0                                 // 0000000032AC: D3D94031 18000080
	v_accvgpr_write_b32 a50, 0                                 // 0000000032B4: D3D94032 18000080
	v_accvgpr_write_b32 a51, 0                                 // 0000000032BC: D3D94033 18000080
	v_accvgpr_write_b32 a52, 0                                 // 0000000032C4: D3D94034 18000080
	v_accvgpr_write_b32 a53, 0                                 // 0000000032CC: D3D94035 18000080
	s_add_u32 s62, 0x200, s60                                  // 0000000032D4: 803E3CFF 00000200
	s_cmp_lt_u32 s62, s61                                      // 0000000032DC: BF0A3D3E
	s_cselect_b32 s66, s66, 0                                  // 0000000032E0: 85428042
	s_cselect_b32 s68, s68, 0                                  // 0000000032E4: 85448044
	s_add_u32 s12, s12, s66                                    // 0000000032E8: 800C420C
	s_addc_u32 s13, 0, s13                                     // 0000000032EC: 820D0D80
	s_sub_u32 s14, s14, s66                                    // 0000000032F0: 808E420E
	s_add_u32 s20, s20, s68                                    // 0000000032F4: 80144414
	s_addc_u32 s21, 0, s21                                     // 0000000032F8: 82151580
	s_sub_u32 s22, s22, s68                                    // 0000000032FC: 80964416
	buffer_load_dwordx4 v[88:91], v204, s[16:19], 0 offen      // 000000003300: E05C1000 800458CC
	v_accvgpr_write_b32 a54, 0                                 // 000000003308: D3D94036 18000080
	v_accvgpr_write_b32 a55, 0                                 // 000000003310: D3D94037 18000080
	v_accvgpr_write_b32 a56, 0                                 // 000000003318: D3D94038 18000080
	v_accvgpr_write_b32 a57, 0                                 // 000000003320: D3D94039 18000080
	v_accvgpr_write_b32 a58, 0                                 // 000000003328: D3D9403A 18000080
	v_accvgpr_write_b32 a59, 0                                 // 000000003330: D3D9403B 18000080
	buffer_load_dwordx4 v[92:95], v205, s[16:19], 0 offen      // 000000003338: E05C1000 80045CCD
	v_accvgpr_write_b32 a60, 0                                 // 000000003340: D3D9403C 18000080
	v_accvgpr_write_b32 a61, 0                                 // 000000003348: D3D9403D 18000080
	v_accvgpr_write_b32 a62, 0                                 // 000000003350: D3D9403E 18000080
	v_accvgpr_write_b32 a63, 0                                 // 000000003358: D3D9403F 18000080
	v_accvgpr_write_b32 a64, 0                                 // 000000003360: D3D94040 18000080
	v_accvgpr_write_b32 a65, 0                                 // 000000003368: D3D94041 18000080
	buffer_load_dwordx4 v[96:99], v204, s[16:19], 0 offen offset:1024// 000000003370: E05C1400 800460CC
	v_accvgpr_write_b32 a66, 0                                 // 000000003378: D3D94042 18000080
	v_accvgpr_write_b32 a67, 0                                 // 000000003380: D3D94043 18000080
	v_accvgpr_write_b32 a68, 0                                 // 000000003388: D3D94044 18000080
	v_accvgpr_write_b32 a69, 0                                 // 000000003390: D3D94045 18000080
	v_accvgpr_write_b32 a70, 0                                 // 000000003398: D3D94046 18000080
	v_accvgpr_write_b32 a71, 0                                 // 0000000033A0: D3D94047 18000080
	buffer_load_dwordx4 v[100:103], v205, s[16:19], 0 offen offset:1024// 0000000033A8: E05C1400 800464CD
	v_accvgpr_write_b32 a72, 0                                 // 0000000033B0: D3D94048 18000080
	v_accvgpr_write_b32 a73, 0                                 // 0000000033B8: D3D94049 18000080
	v_accvgpr_write_b32 a74, 0                                 // 0000000033C0: D3D9404A 18000080
	v_accvgpr_write_b32 a75, 0                                 // 0000000033C8: D3D9404B 18000080
	v_accvgpr_write_b32 a76, 0                                 // 0000000033D0: D3D9404C 18000080
	v_accvgpr_write_b32 a77, 0                                 // 0000000033D8: D3D9404D 18000080
	buffer_load_dword v189, v217, s[24:27], 0 offen            // 0000000033E0: E0501000 8006BDD9
	v_accvgpr_write_b32 a78, 0                                 // 0000000033E8: D3D9404E 18000080
	v_accvgpr_write_b32 a79, 0                                 // 0000000033F0: D3D9404F 18000080
	v_accvgpr_write_b32 a80, 0                                 // 0000000033F8: D3D94050 18000080
	v_accvgpr_write_b32 a81, 0                                 // 000000003400: D3D94051 18000080
	v_accvgpr_write_b32 a82, 0                                 // 000000003408: D3D94052 18000080
	v_accvgpr_write_b32 a83, 0                                 // 000000003410: D3D94053 18000080
	buffer_load_dwordx4 v[104:107], v206, s[16:19], 0 offen    // 000000003418: E05C1000 800468CE
	v_accvgpr_write_b32 a84, 0                                 // 000000003420: D3D94054 18000080
	v_accvgpr_write_b32 a85, 0                                 // 000000003428: D3D94055 18000080
	v_accvgpr_write_b32 a86, 0                                 // 000000003430: D3D94056 18000080
	v_accvgpr_write_b32 a87, 0                                 // 000000003438: D3D94057 18000080
	v_accvgpr_write_b32 a88, 0                                 // 000000003440: D3D94058 18000080
	v_accvgpr_write_b32 a89, 0                                 // 000000003448: D3D94059 18000080
	buffer_load_dwordx4 v[108:111], v207, s[16:19], 0 offen    // 000000003450: E05C1000 80046CCF
	v_accvgpr_write_b32 a90, 0                                 // 000000003458: D3D9405A 18000080
	v_accvgpr_write_b32 a91, 0                                 // 000000003460: D3D9405B 18000080
	v_accvgpr_write_b32 a92, 0                                 // 000000003468: D3D9405C 18000080
	v_accvgpr_write_b32 a93, 0                                 // 000000003470: D3D9405D 18000080
	v_accvgpr_write_b32 a94, 0                                 // 000000003478: D3D9405E 18000080
	v_accvgpr_write_b32 a95, 0                                 // 000000003480: D3D9405F 18000080
	buffer_load_dwordx4 v[112:115], v206, s[16:19], 0 offen offset:1024// 000000003488: E05C1400 800470CE
	v_accvgpr_write_b32 a96, 0                                 // 000000003490: D3D94060 18000080
	v_accvgpr_write_b32 a97, 0                                 // 000000003498: D3D94061 18000080
	v_accvgpr_write_b32 a98, 0                                 // 0000000034A0: D3D94062 18000080
	v_accvgpr_write_b32 a99, 0                                 // 0000000034A8: D3D94063 18000080
	v_accvgpr_write_b32 a100, 0                                // 0000000034B0: D3D94064 18000080
	v_accvgpr_write_b32 a101, 0                                // 0000000034B8: D3D94065 18000080
	buffer_load_dwordx4 v[116:119], v207, s[16:19], 0 offen offset:1024// 0000000034C0: E05C1400 800474CF
	v_accvgpr_write_b32 a102, 0                                // 0000000034C8: D3D94066 18000080
	v_accvgpr_write_b32 a103, 0                                // 0000000034D0: D3D94067 18000080
	v_accvgpr_write_b32 a104, 0                                // 0000000034D8: D3D94068 18000080
	v_accvgpr_write_b32 a105, 0                                // 0000000034E0: D3D94069 18000080
	v_accvgpr_write_b32 a106, 0                                // 0000000034E8: D3D9406A 18000080
	v_accvgpr_write_b32 a107, 0                                // 0000000034F0: D3D9406B 18000080
	buffer_load_dword v190, v218, s[24:27], 0 offen            // 0000000034F8: E0501000 8006BEDA
	v_accvgpr_write_b32 a108, 0                                // 000000003500: D3D9406C 18000080
	v_accvgpr_write_b32 a109, 0                                // 000000003508: D3D9406D 18000080
	v_accvgpr_write_b32 a110, 0                                // 000000003510: D3D9406E 18000080
	v_accvgpr_write_b32 a111, 0                                // 000000003518: D3D9406F 18000080
	s_waitcnt vmcnt(15)                                        // 000000003520: BF8C0F7F
	s_barrier                                                  // 000000003524: BF8A0000
	ds_read_b128 v[8:11], v196                                 // 000000003528: D9FE0000 080000C4
	ds_read_b128 v[16:19], v196 offset:64                      // 000000003530: D9FE0040 100000C4
	ds_read_b128 v[12:15], v196 offset:512                     // 000000003538: D9FE0200 0C0000C4
	ds_read_b128 v[20:23], v196 offset:576                     // 000000003540: D9FE0240 140000C4
	ds_read_b32 v184, v201                                     // 000000003548: D86C0000 B80000C9
	ds_read_b128 v[24:27], v197                                // 000000003550: D9FE0000 180000C5
	ds_read_b128 v[32:35], v197 offset:64                      // 000000003558: D9FE0040 200000C5
	ds_read_b128 v[28:31], v197 offset:512                     // 000000003560: D9FE0200 1C0000C5
	ds_read_b128 v[36:39], v197 offset:576                     // 000000003568: D9FE0240 240000C5
	ds_read_b32 v185, v201 offset:1024                         // 000000003570: D86C0400 B90000C9
	s_nop 0                                                    // 000000003578: BF800000
	s_nop 0                                                    // 00000000357C: BF800000
	s_nop 0                                                    // 000000003580: BF800000
	s_nop 0                                                    // 000000003584: BF800000
	s_nop 0                                                    // 000000003588: BF800000
	s_lshl_b32 s36, s36, 1                                     // 00000000358C: 8E248124
	s_mul_i32 s62, s48, 32                                     // 000000003590: 923EA030
	s_mul_hi_u32 s63, s36, s62                                 // 000000003594: 963F3E24
	s_add_u32 s5, s5, s63                                      // 000000003598: 80053F05
	s_mul_i32 s63, s36, s62                                    // 00000000359C: 923F3E24
	s_add_u32 s4, s4, s63                                      // 0000000035A0: 80043F04
	s_addc_u32 s5, s5, 0                                       // 0000000035A4: 82058005
	s_mul_i32 s63, s47, 0x380                                  // 0000000035A8: 923FFF2F 00000380
	s_lshl_b32 s63, s63, 1                                     // 0000000035B0: 8E3F813F
	s_add_u32 s4, s4, s63                                      // 0000000035B4: 80043F04
	s_addc_u32 s5, s5, 0                                       // 0000000035B8: 82058005
	s_sub_i32 s62, s43, s62                                    // 0000000035BC: 81BE3E2B
	s_cmp_lt_u32 s62, 32                                       // 0000000035C0: BF0AA03E
	s_cselect_b32 s62, s62, 32                                 // 0000000035C4: 853EA03E
	s_mul_i32 s62, s36, s62                                    // 0000000035C8: 923E3E24
	s_sub_i32 s6, s62, s63                                     // 0000000035CC: 81863F3E
	s_mov_b32 s7, 0x20000                                      // 0000000035D0: BE8700FF 00020000
	s_mul_i32 s62, s46, 0xe0                                   // 0000000035D8: 923EFF2E 000000E0
	s_lshl_b32 s62, s62, 1                                     // 0000000035E0: 8E3E813E
	v_lshrrev_b32_e32 v4, 5, v0                                // 0000000035E4: 20080085
	v_mul_i32_i24_e32 v4, 16, v4                               // 0000000035E8: 0C080890
	v_lshrrev_b32_e32 v5, 4, v0                                // 0000000035EC: 200A0084
	v_and_b32_e32 v5, 1, v5                                    // 0000000035F0: 260A0A81
	v_mul_i32_i24_e32 v5, 32, v5                               // 0000000035F4: 0C0A0AA0
	v_add_u32_e32 v4, v4, v5                                   // 0000000035F8: 68080B04
	v_and_b32_e32 v5, 15, v0                                   // 0000000035FC: 260A008F
	v_mul_lo_u32 v223, s36, v5                                 // 000000003600: D28500DF 00020A24
	v_add_u32_e32 v223, s62, v223                              // 000000003608: 69BFBE3E
	v_add_u32_e32 v223, v4, v223                               // 00000000360C: 69BFBF04
	s_cmp_lt_i32 s46, 2                                        // 000000003610: BF04822E
	s_cbranch_scc0 label_07E9                                  // 000000003614: BF840563

0000000000003618 <label_0286>:
	s_waitcnt vmcnt(10) lgkmcnt(5)                             // 000000003618: BF8C057A
	v_mfma_scale_f32_16x16x128_f8f6f4 a[0:3], v[72:75], v[8:11], a[0:3], v188, v184 op_sel_hi:[0,0,0] cbsz:4 blgp:4// 00000000361C: D3AC6000 000371BC D3AD8C00 84021148
	v_mfma_scale_f32_16x16x128_f8f6f4 a[4:7], v[72:75], v[12:15], a[4:7], v188, v184 op_sel_hi:[0,0,0] cbsz:4 blgp:4// 00000000362C: D3AC7000 000371BC D3AD8C04 84121948
	buffer_load_dwordx4 v[120:123], v208, s[16:19], 0 offen    // 00000000363C: E05C1000 800478D0
	v_mfma_scale_f32_16x16x128_f8f6f4 a[8:11], v[76:79], v[8:11], a[8:11], v188, v184 op_sel_hi:[0,0,0] cbsz:4 blgp:4// 000000003644: D3AC6800 000371BC D3AD8C08 8422114C
	v_mfma_scale_f32_16x16x128_f8f6f4 a[12:15], v[76:79], v[12:15], a[12:15], v188, v184 op_sel_hi:[0,0,0] cbsz:4 blgp:4// 000000003654: D3AC7800 000371BC D3AD8C0C 8432194C
	buffer_load_dwordx4 v[124:127], v209, s[16:19], 0 offen    // 000000003664: E05C1000 80047CD1
	v_mfma_scale_f32_16x16x128_f8f6f4 a[0:3], v[80:83], v[16:19], a[0:3], v188, v184 op_sel_hi:[0,0,0] cbsz:4 blgp:4// 00000000366C: D3AC6000 180371BC D3AD8C00 84022150
	v_mfma_scale_f32_16x16x128_f8f6f4 a[4:7], v[80:83], v[20:23], a[4:7], v188, v184 op_sel_hi:[0,0,0] cbsz:4 blgp:4// 00000000367C: D3AC7000 180371BC D3AD8C04 84122950
	buffer_load_dwordx4 v[128:131], v208, s[16:19], 0 offen offset:1024// 00000000368C: E05C1400 800480D0
	v_mfma_scale_f32_16x16x128_f8f6f4 a[8:11], v[84:87], v[16:19], a[8:11], v188, v184 op_sel_hi:[0,0,0] cbsz:4 blgp:4// 000000003694: D3AC6800 180371BC D3AD8C08 84222154
	v_mfma_scale_f32_16x16x128_f8f6f4 a[12:15], v[84:87], v[20:23], a[12:15], v188, v184 op_sel_hi:[0,0,0] cbsz:4 blgp:4// 0000000036A4: D3AC7800 180371BC D3AD8C0C 84322954
	buffer_load_dwordx4 v[132:135], v209, s[16:19], 0 offen offset:1024// 0000000036B4: E05C1400 800484D1
	buffer_load_dword v191, v219, s[24:27], 0 offen            // 0000000036BC: E0501000 8006BFDB
	s_waitcnt vmcnt(10)                                        // 0000000036C4: BF8C0F7A
	v_mfma_scale_f32_16x16x128_f8f6f4 a[16:19], v[88:91], v[8:11], a[16:19], v189, v184 op_sel_hi:[0,0,0] cbsz:4 blgp:4// 0000000036C8: D3AC6000 000371BD D3AD8C10 84421158
	v_mfma_scale_f32_16x16x128_f8f6f4 a[20:23], v[88:91], v[12:15], a[20:23], v189, v184 op_sel_hi:[0,0,0] cbsz:4 blgp:4// 0000000036D8: D3AC7000 000371BD D3AD8C14 84521958
	buffer_load_dwordx4 v[136:139], v210, s[16:19], 0 offen    // 0000000036E8: E05C1000 800488D2
	v_mfma_scale_f32_16x16x128_f8f6f4 a[24:27], v[92:95], v[8:11], a[24:27], v189, v184 op_sel_hi:[0,0,0] cbsz:4 blgp:4// 0000000036F0: D3AC6800 000371BD D3AD8C18 8462115C
	v_mfma_scale_f32_16x16x128_f8f6f4 a[28:31], v[92:95], v[12:15], a[28:31], v189, v184 op_sel_hi:[0,0,0] cbsz:4 blgp:4// 000000003700: D3AC7800 000371BD D3AD8C1C 8472195C
	buffer_load_dwordx4 v[140:143], v211, s[16:19], 0 offen    // 000000003710: E05C1000 80048CD3
	v_mfma_scale_f32_16x16x128_f8f6f4 a[16:19], v[96:99], v[16:19], a[16:19], v189, v184 op_sel_hi:[0,0,0] cbsz:4 blgp:4// 000000003718: D3AC6000 180371BD D3AD8C10 84422160
	v_mfma_scale_f32_16x16x128_f8f6f4 a[20:23], v[96:99], v[20:23], a[20:23], v189, v184 op_sel_hi:[0,0,0] cbsz:4 blgp:4// 000000003728: D3AC7000 180371BD D3AD8C14 84522960
	buffer_load_dwordx4 v[144:147], v210, s[16:19], 0 offen offset:1024// 000000003738: E05C1400 800490D2
	v_mfma_scale_f32_16x16x128_f8f6f4 a[24:27], v[100:103], v[16:19], a[24:27], v189, v184 op_sel_hi:[0,0,0] cbsz:4 blgp:4// 000000003740: D3AC6800 180371BD D3AD8C18 84622164
	v_mfma_scale_f32_16x16x128_f8f6f4 a[28:31], v[100:103], v[20:23], a[28:31], v189, v184 op_sel_hi:[0,0,0] cbsz:4 blgp:4// 000000003750: D3AC7800 180371BD D3AD8C1C 84722964
	buffer_load_dwordx4 v[148:151], v211, s[16:19], 0 offen offset:1024// 000000003760: E05C1400 800494D3
	buffer_load_dword v192, v220, s[24:27], 0 offen            // 000000003768: E0501000 8006C0DC
	s_waitcnt vmcnt(10)                                        // 000000003770: BF8C0F7A
	v_mfma_scale_f32_16x16x128_f8f6f4 a[32:35], v[104:107], v[8:11], a[32:35], v190, v184 op_sel_hi:[0,0,0] cbsz:4 blgp:4// 000000003774: D3AC6000 000371BE D3AD8C20 84821168
	v_mfma_scale_f32_16x16x128_f8f6f4 a[36:39], v[104:107], v[12:15], a[36:39], v190, v184 op_sel_hi:[0,0,0] cbsz:4 blgp:4// 000000003784: D3AC7000 000371BE D3AD8C24 84921968
	buffer_load_dwordx4 v[152:155], v212, s[16:19], 0 offen    // 000000003794: E05C1000 800498D4
	v_mfma_scale_f32_16x16x128_f8f6f4 a[40:43], v[108:111], v[8:11], a[40:43], v190, v184 op_sel_hi:[0,0,0] cbsz:4 blgp:4// 00000000379C: D3AC6800 000371BE D3AD8C28 84A2116C
	v_mfma_scale_f32_16x16x128_f8f6f4 a[44:47], v[108:111], v[12:15], a[44:47], v190, v184 op_sel_hi:[0,0,0] cbsz:4 blgp:4// 0000000037AC: D3AC7800 000371BE D3AD8C2C 84B2196C
	buffer_load_dwordx4 v[156:159], v213, s[16:19], 0 offen    // 0000000037BC: E05C1000 80049CD5
	v_mfma_scale_f32_16x16x128_f8f6f4 a[32:35], v[112:115], v[16:19], a[32:35], v190, v184 op_sel_hi:[0,0,0] cbsz:4 blgp:4// 0000000037C4: D3AC6000 180371BE D3AD8C20 84822170
	v_mfma_scale_f32_16x16x128_f8f6f4 a[36:39], v[112:115], v[20:23], a[36:39], v190, v184 op_sel_hi:[0,0,0] cbsz:4 blgp:4// 0000000037D4: D3AC7000 180371BE D3AD8C24 84922970
	buffer_load_dwordx4 v[160:163], v212, s[16:19], 0 offen offset:1024// 0000000037E4: E05C1400 8004A0D4
	v_mfma_scale_f32_16x16x128_f8f6f4 a[40:43], v[116:119], v[16:19], a[40:43], v190, v184 op_sel_hi:[0,0,0] cbsz:4 blgp:4// 0000000037EC: D3AC6800 180371BE D3AD8C28 84A22174
	v_mfma_scale_f32_16x16x128_f8f6f4 a[44:47], v[116:119], v[20:23], a[44:47], v190, v184 op_sel_hi:[0,0,0] cbsz:4 blgp:4// 0000000037FC: D3AC7800 180371BE D3AD8C2C 84B22974
	buffer_load_dwordx4 v[164:167], v213, s[16:19], 0 offen offset:1024// 00000000380C: E05C1400 8004A4D5
	buffer_load_dword v193, v221, s[24:27], 0 offen            // 000000003814: E0501000 8006C1DD
	s_waitcnt vmcnt(10)                                        // 00000000381C: BF8C0F7A
	v_mfma_scale_f32_16x16x128_f8f6f4 a[48:51], v[120:123], v[8:11], a[48:51], v191, v184 op_sel_hi:[0,0,0] cbsz:4 blgp:4// 000000003820: D3AC6000 000371BF D3AD8C30 84C21178
	s_add_u32 s63, 0x100, s60                                  // 000000003830: 803F3CFF 00000100
	s_cmp_lt_u32 s63, s61                                      // 000000003838: BF0A3D3F
	v_mfma_scale_f32_16x16x128_f8f6f4 a[52:55], v[120:123], v[12:15], a[52:55], v191, v184 op_sel_hi:[0,0,0] cbsz:4 blgp:4// 00000000383C: D3AC7000 000371BF D3AD8C34 84D21978
	s_cselect_b32 s67, s67, 0                                  // 00000000384C: 85438043
	buffer_load_dwordx4 v[168:171], v214, s[16:19], 0 offen    // 000000003850: E05C1000 8004A8D6
	v_mfma_scale_f32_16x16x128_f8f6f4 a[56:59], v[124:127], v[8:11], a[56:59], v191, v184 op_sel_hi:[0,0,0] cbsz:4 blgp:4// 000000003858: D3AC6800 000371BF D3AD8C38 84E2117C
	s_cselect_b32 s69, s69, 0                                  // 000000003868: 85458045
	v_mfma_scale_f32_16x16x128_f8f6f4 a[60:63], v[124:127], v[12:15], a[60:63], v191, v184 op_sel_hi:[0,0,0] cbsz:4 blgp:4// 00000000386C: D3AC7800 000371BF D3AD8C3C 84F2197C
	buffer_load_dwordx4 v[172:175], v215, s[16:19], 0 offen    // 00000000387C: E05C1000 8004ACD7
	v_mfma_scale_f32_16x16x128_f8f6f4 a[48:51], v[128:131], v[16:19], a[48:51], v191, v184 op_sel_hi:[0,0,0] cbsz:4 blgp:4// 000000003884: D3AC6000 180371BF D3AD8C30 84C22180
	v_mfma_scale_f32_16x16x128_f8f6f4 a[52:55], v[128:131], v[20:23], a[52:55], v191, v184 op_sel_hi:[0,0,0] cbsz:4 blgp:4// 000000003894: D3AC7000 180371BF D3AD8C34 84D22980
	buffer_load_dwordx4 v[176:179], v214, s[16:19], 0 offen offset:1024// 0000000038A4: E05C1400 8004B0D6
	v_mfma_scale_f32_16x16x128_f8f6f4 a[56:59], v[132:135], v[16:19], a[56:59], v191, v184 op_sel_hi:[0,0,0] cbsz:4 blgp:4// 0000000038AC: D3AC6800 180371BF D3AD8C38 84E22184
	v_mfma_scale_f32_16x16x128_f8f6f4 a[60:63], v[132:135], v[20:23], a[60:63], v191, v184 op_sel_hi:[0,0,0] cbsz:4 blgp:4// 0000000038BC: D3AC7800 180371BF D3AD8C3C 84F22984
	buffer_load_dwordx4 v[180:183], v215, s[16:19], 0 offen offset:1024// 0000000038CC: E05C1400 8004B4D7
	buffer_load_dword v194, v222, s[24:27], 0 offen            // 0000000038D4: E0501000 8006C2DE
	s_add_u32 s16, s16, s67                                    // 0000000038DC: 80104310
	s_addc_u32 s17, 0, s17                                     // 0000000038E0: 82111180
	s_sub_u32 s18, s18, s67                                    // 0000000038E4: 80924312
	s_add_u32 s24, s24, s69                                    // 0000000038E8: 80184518
	s_addc_u32 s25, 0, s25                                     // 0000000038EC: 82191980
	s_sub_u32 s26, s26, s69                                    // 0000000038F0: 809A451A
	s_add_u32 m0, 0x800, s65                                   // 0000000038F4: 807C41FF 00000800
	buffer_load_dword v200, s[20:23], 0 offen lds              // 0000000038FC: E0511000 800500C8
	s_waitcnt vmcnt(11)                                        // 000000003904: BF8C0F7B
	v_mfma_scale_f32_16x16x128_f8f6f4 a[64:67], v[136:139], v[8:11], a[64:67], v192, v184 op_sel_hi:[0,0,0] cbsz:4 blgp:4// 000000003908: D3AC6000 000371C0 D3AD8C40 85021188
	v_mfma_scale_f32_16x16x128_f8f6f4 a[68:71], v[136:139], v[12:15], a[68:71], v192, v184 op_sel_hi:[0,0,0] cbsz:4 blgp:4// 000000003918: D3AC7000 000371C0 D3AD8C44 85121988
	s_add_u32 m0, 0x2100, s64                                  // 000000003928: 807C40FF 00002100
	buffer_load_dwordx4 v195, s[12:15], 0 offen lds            // 000000003930: E05D1000 800300C3
	v_mfma_scale_f32_16x16x128_f8f6f4 a[72:75], v[140:143], v[8:11], a[72:75], v192, v184 op_sel_hi:[0,0,0] cbsz:4 blgp:4// 000000003938: D3AC2800 000371C0 D3AD8C48 8522118C
	s_add_u32 s62, 0x300, s60                                  // 000000003948: 803E3CFF 00000300
	s_cmp_lt_u32 s62, s61                                      // 000000003950: BF0A3D3E
	v_mfma_scale_f32_16x16x128_f8f6f4 a[76:79], v[140:143], v[12:15], a[76:79], v192, v184 op_sel_hi:[0,0,0] cbsz:4 blgp:4// 000000003954: D3AC5800 000371C0 D3AD8C4C 8532198C
	s_cselect_b32 s66, s66, 0                                  // 000000003964: 85428042
	buffer_load_dwordx4 v[72:75], v202, s[16:19], 0 offen      // 000000003968: E05C1000 800448CA
	v_mfma_scale_f32_16x16x128_f8f6f4 a[64:67], v[144:147], v[16:19], a[64:67], v192, v184 op_sel_hi:[0,0,0] cbsz:4 blgp:4// 000000003970: D3AC6000 180371C0 D3AD8C40 85022190
	s_cselect_b32 s68, s68, 0                                  // 000000003980: 85448044
	s_add_u32 s12, s12, s66                                    // 000000003984: 800C420C
	v_mfma_scale_f32_16x16x128_f8f6f4 a[68:71], v[144:147], v[20:23], a[68:71], v192, v184 op_sel_hi:[0,0,0] cbsz:4 blgp:4// 000000003988: D3AC7000 180371C0 D3AD8C44 85122990
	s_addc_u32 s13, 0, s13                                     // 000000003998: 820D0D80
	buffer_load_dwordx4 v[76:79], v203, s[16:19], 0 offen      // 00000000399C: E05C1000 80044CCB
	v_mfma_scale_f32_16x16x128_f8f6f4 a[72:75], v[148:151], v[16:19], a[72:75], v192, v184 op_sel_hi:[0,0,0] cbsz:4 blgp:4// 0000000039A4: D3AC6800 180371C0 D3AD8C48 85222194
	s_sub_u32 s14, s14, s66                                    // 0000000039B4: 808E420E
	s_add_u32 s20, s20, s68                                    // 0000000039B8: 80144414
	v_mfma_scale_f32_16x16x128_f8f6f4 a[76:79], v[148:151], v[20:23], a[76:79], v192, v184 op_sel_hi:[0,0,0] cbsz:4 blgp:4// 0000000039BC: D3AC7800 180371C0 D3AD8C4C 85322994
	s_addc_u32 s21, 0, s21                                     // 0000000039CC: 82151580
	buffer_load_dwordx4 v[80:83], v202, s[16:19], 0 offen offset:1024// 0000000039D0: E05C1400 800450CA
	s_sub_u32 s22, s22, s68                                    // 0000000039D8: 80964416
	buffer_load_dwordx4 v[84:87], v203, s[16:19], 0 offen offset:1024// 0000000039DC: E05C1400 800454CB
	buffer_load_dword v188, v216, s[24:27], 0 offen            // 0000000039E4: E0501000 8006BCD8
	s_waitcnt vmcnt(12)                                        // 0000000039EC: BF8C0F7C
	v_mfma_scale_f32_16x16x128_f8f6f4 a[80:83], v[152:155], v[8:11], a[80:83], v193, v184 op_sel_hi:[0,0,0] cbsz:4 blgp:4// 0000000039F0: D3AC6000 000371C1 D3AD8C50 85421198
	v_mfma_scale_f32_16x16x128_f8f6f4 a[84:87], v[152:155], v[12:15], a[84:87], v193, v184 op_sel_hi:[0,0,0] cbsz:4 blgp:4// 000000003A00: D3AC7000 000371C1 D3AD8C54 85521998
	buffer_load_dwordx4 v[88:91], v204, s[16:19], 0 offen      // 000000003A10: E05C1000 800458CC
	v_mfma_scale_f32_16x16x128_f8f6f4 a[88:91], v[156:159], v[8:11], a[88:91], v193, v184 op_sel_hi:[0,0,0] cbsz:4 blgp:4// 000000003A18: D3AC6800 000371C1 D3AD8C58 8562119C
	v_mfma_scale_f32_16x16x128_f8f6f4 a[92:95], v[156:159], v[12:15], a[92:95], v193, v184 op_sel_hi:[0,0,0] cbsz:4 blgp:4// 000000003A28: D3AC7800 000371C1 D3AD8C5C 8572199C
	buffer_load_dwordx4 v[92:95], v205, s[16:19], 0 offen      // 000000003A38: E05C1000 80045CCD
	v_mfma_scale_f32_16x16x128_f8f6f4 a[80:83], v[160:163], v[16:19], a[80:83], v193, v184 op_sel_hi:[0,0,0] cbsz:4 blgp:4// 000000003A40: D3AC6000 180371C1 D3AD8C50 854221A0
	v_mfma_scale_f32_16x16x128_f8f6f4 a[84:87], v[160:163], v[20:23], a[84:87], v193, v184 op_sel_hi:[0,0,0] cbsz:4 blgp:4// 000000003A50: D3AC7000 180371C1 D3AD8C54 855229A0
	buffer_load_dwordx4 v[96:99], v204, s[16:19], 0 offen offset:1024// 000000003A60: E05C1400 800460CC
	v_mfma_scale_f32_16x16x128_f8f6f4 a[88:91], v[164:167], v[16:19], a[88:91], v193, v184 op_sel_hi:[0,0,0] cbsz:4 blgp:4// 000000003A68: D3AC6800 180371C1 D3AD8C58 856221A4
	v_mfma_scale_f32_16x16x128_f8f6f4 a[92:95], v[164:167], v[20:23], a[92:95], v193, v184 op_sel_hi:[0,0,0] cbsz:4 blgp:4// 000000003A78: D3AC7800 180371C1 D3AD8C5C 857229A4
	buffer_load_dwordx4 v[100:103], v205, s[16:19], 0 offen offset:1024// 000000003A88: E05C1400 800464CD
	buffer_load_dword v189, v217, s[24:27], 0 offen            // 000000003A90: E0501000 8006BDD9
	s_waitcnt vmcnt(10)                                        // 000000003A98: BF8C0F7A
	s_barrier                                                  // 000000003A9C: BF8A0000
	v_mfma_scale_f32_16x16x128_f8f6f4 a[96:99], v[168:171], v[8:11], a[96:99], v194, v184 op_sel_hi:[0,0,0] cbsz:4 blgp:4// 000000003AA0: D3AC6000 000371C2 D3AD8C60 858211A8
	s_addk_i32 s60, 0x100                                      // 000000003AB0: B73C0100
	ds_read_b128 v[40:43], v198                                // 000000003AB4: D9FE0000 280000C6
	v_mfma_scale_f32_16x16x128_f8f6f4 a[100:103], v[168:171], v[12:15], a[100:103], v194, v184 op_sel_hi:[0,0,0] cbsz:4 blgp:4// 000000003ABC: D3AC7000 000371C2 D3AD8C64 859219A8
	s_cmp_lt_i32 s60, s61                                      // 000000003ACC: BF043D3C
	buffer_load_dwordx4 v[104:107], v206, s[16:19], 0 offen    // 000000003AD0: E05C1000 800468CE
	v_mfma_scale_f32_16x16x128_f8f6f4 a[104:107], v[172:175], v[8:11], a[104:107], v194, v184 op_sel_hi:[0,0,0] cbsz:4 blgp:4// 000000003AD8: D3AC4800 000371C2 D3AD8C68 85A211AC
	ds_read_b128 v[48:51], v198 offset:64                      // 000000003AE8: D9FE0040 300000C6
	v_mfma_scale_f32_16x16x128_f8f6f4 a[108:111], v[172:175], v[12:15], a[108:111], v194, v184 op_sel_hi:[0,0,0] cbsz:4 blgp:4// 000000003AF0: D3AC7800 000371C2 D3AD8C6C 85B219AC
	buffer_load_dwordx4 v[108:111], v207, s[16:19], 0 offen    // 000000003B00: E05C1000 80046CCF
	v_mfma_scale_f32_16x16x128_f8f6f4 a[96:99], v[176:179], v[16:19], a[96:99], v194, v184 op_sel_hi:[0,0,0] cbsz:4 blgp:4// 000000003B08: D3AC6000 180371C2 D3AD8C60 858221B0
	ds_read_b128 v[44:47], v198 offset:512                     // 000000003B18: D9FE0200 2C0000C6
	v_mfma_scale_f32_16x16x128_f8f6f4 a[100:103], v[176:179], v[20:23], a[100:103], v194, v184 op_sel_hi:[0,0,0] cbsz:4 blgp:4// 000000003B20: D3AC7000 180371C2 D3AD8C64 859229B0
	buffer_load_dwordx4 v[112:115], v206, s[16:19], 0 offen offset:1024// 000000003B30: E05C1400 800470CE
	v_mfma_scale_f32_16x16x128_f8f6f4 a[104:107], v[180:183], v[16:19], a[104:107], v194, v184 op_sel_hi:[0,0,0] cbsz:4 blgp:4// 000000003B38: D3AC6800 180371C2 D3AD8C68 85A221B4
	ds_read_b128 v[52:55], v198 offset:576                     // 000000003B48: D9FE0240 340000C6
	v_mfma_scale_f32_16x16x128_f8f6f4 a[108:111], v[180:183], v[20:23], a[108:111], v194, v184 op_sel_hi:[0,0,0] cbsz:4 blgp:4// 000000003B50: D3AC7800 180371C2 D3AD8C6C 85B229B4
	buffer_load_dwordx4 v[116:119], v207, s[16:19], 0 offen offset:1024// 000000003B60: E05C1400 800474CF
	ds_read_b32 v186, v201 offset:2048                         // 000000003B68: D86C0800 BA0000C9
	buffer_load_dword v190, v218, s[24:27], 0 offen            // 000000003B70: E0501000 8006BEDA
	s_cbranch_scc0 label_0D4C                                  // 000000003B78: BF84096D
	s_waitcnt vmcnt(10) lgkmcnt(5)                             // 000000003B7C: BF8C057A
	v_mfma_scale_f32_16x16x128_f8f6f4 a[0:3], v[72:75], v[24:27], a[0:3], v188, v185 op_sel_hi:[0,0,0] cbsz:4 blgp:4// 000000003B80: D3AC6000 000373BC D3AD8C00 84023148
	v_mfma_scale_f32_16x16x128_f8f6f4 a[4:7], v[72:75], v[28:31], a[4:7], v188, v185 op_sel_hi:[0,0,0] cbsz:4 blgp:4// 000000003B90: D3AC7000 000373BC D3AD8C04 84123948
	buffer_load_dwordx4 v[120:123], v208, s[16:19], 0 offen    // 000000003BA0: E05C1000 800478D0
	v_mfma_scale_f32_16x16x128_f8f6f4 a[8:11], v[76:79], v[24:27], a[8:11], v188, v185 op_sel_hi:[0,0,0] cbsz:4 blgp:4// 000000003BA8: D3AC6800 000373BC D3AD8C08 8422314C
	v_mfma_scale_f32_16x16x128_f8f6f4 a[12:15], v[76:79], v[28:31], a[12:15], v188, v185 op_sel_hi:[0,0,0] cbsz:4 blgp:4// 000000003BB8: D3AC7800 000373BC D3AD8C0C 8432394C
	buffer_load_dwordx4 v[124:127], v209, s[16:19], 0 offen    // 000000003BC8: E05C1000 80047CD1
	v_mfma_scale_f32_16x16x128_f8f6f4 a[0:3], v[80:83], v[32:35], a[0:3], v188, v185 op_sel_hi:[0,0,0] cbsz:4 blgp:4// 000000003BD0: D3AC6000 180373BC D3AD8C00 84024150
	v_mfma_scale_f32_16x16x128_f8f6f4 a[4:7], v[80:83], v[36:39], a[4:7], v188, v185 op_sel_hi:[0,0,0] cbsz:4 blgp:4// 000000003BE0: D3AC7000 180373BC D3AD8C04 84124950
	buffer_load_dwordx4 v[128:131], v208, s[16:19], 0 offen offset:1024// 000000003BF0: E05C1400 800480D0
	v_mfma_scale_f32_16x16x128_f8f6f4 a[8:11], v[84:87], v[32:35], a[8:11], v188, v185 op_sel_hi:[0,0,0] cbsz:4 blgp:4// 000000003BF8: D3AC6800 180373BC D3AD8C08 84224154
	v_mfma_scale_f32_16x16x128_f8f6f4 a[12:15], v[84:87], v[36:39], a[12:15], v188, v185 op_sel_hi:[0,0,0] cbsz:4 blgp:4// 000000003C08: D3AC7800 180373BC D3AD8C0C 84324954
	buffer_load_dwordx4 v[132:135], v209, s[16:19], 0 offen offset:1024// 000000003C18: E05C1400 800484D1
	buffer_load_dword v191, v219, s[24:27], 0 offen            // 000000003C20: E0501000 8006BFDB
	s_waitcnt vmcnt(10)                                        // 000000003C28: BF8C0F7A
	v_mfma_scale_f32_16x16x128_f8f6f4 a[16:19], v[88:91], v[24:27], a[16:19], v189, v185 op_sel_hi:[0,0,0] cbsz:4 blgp:4// 000000003C2C: D3AC6000 000373BD D3AD8C10 84423158
	v_mfma_scale_f32_16x16x128_f8f6f4 a[20:23], v[88:91], v[28:31], a[20:23], v189, v185 op_sel_hi:[0,0,0] cbsz:4 blgp:4// 000000003C3C: D3AC3000 000373BD D3AD8C14 84523958
	buffer_load_dwordx4 v[136:139], v210, s[16:19], 0 offen    // 000000003C4C: E05C1000 800488D2
	v_mfma_scale_f32_16x16x128_f8f6f4 a[24:27], v[92:95], v[24:27], a[24:27], v189, v185 op_sel_hi:[0,0,0] cbsz:4 blgp:4// 000000003C54: D3AC4800 000373BD D3AD8C18 8462315C
	v_mfma_scale_f32_16x16x128_f8f6f4 a[28:31], v[92:95], v[28:31], a[28:31], v189, v185 op_sel_hi:[0,0,0] cbsz:4 blgp:4// 000000003C64: D3AC5800 000373BD D3AD8C1C 8472395C
	buffer_load_dwordx4 v[140:143], v211, s[16:19], 0 offen    // 000000003C74: E05C1000 80048CD3
	v_mfma_scale_f32_16x16x128_f8f6f4 a[16:19], v[96:99], v[32:35], a[16:19], v189, v185 op_sel_hi:[0,0,0] cbsz:4 blgp:4// 000000003C7C: D3AC6000 180373BD D3AD8C10 84424160
	v_mfma_scale_f32_16x16x128_f8f6f4 a[20:23], v[96:99], v[36:39], a[20:23], v189, v185 op_sel_hi:[0,0,0] cbsz:4 blgp:4// 000000003C8C: D3AC5000 180373BD D3AD8C14 84524960
	buffer_load_dwordx4 v[144:147], v210, s[16:19], 0 offen offset:1024// 000000003C9C: E05C1400 800490D2
	v_mfma_scale_f32_16x16x128_f8f6f4 a[24:27], v[100:103], v[32:35], a[24:27], v189, v185 op_sel_hi:[0,0,0] cbsz:4 blgp:4// 000000003CA4: D3AC6800 180373BD D3AD8C18 84624164
	v_mfma_scale_f32_16x16x128_f8f6f4 a[28:31], v[100:103], v[36:39], a[28:31], v189, v185 op_sel_hi:[0,0,0] cbsz:4 blgp:4// 000000003CB4: D3AC5800 180373BD D3AD8C1C 84724964
	buffer_load_dwordx4 v[148:151], v211, s[16:19], 0 offen offset:1024// 000000003CC4: E05C1400 800494D3
	buffer_load_dword v192, v220, s[24:27], 0 offen            // 000000003CCC: E0501000 8006C0DC
	s_waitcnt vmcnt(10)                                        // 000000003CD4: BF8C0F7A
	v_mfma_scale_f32_16x16x128_f8f6f4 a[32:35], v[104:107], v[24:27], a[32:35], v190, v185 op_sel_hi:[0,0,0] cbsz:4 blgp:4// 000000003CD8: D3AC6000 000373BE D3AD8C20 84823168
	v_mfma_scale_f32_16x16x128_f8f6f4 a[36:39], v[104:107], v[28:31], a[36:39], v190, v185 op_sel_hi:[0,0,0] cbsz:4 blgp:4// 000000003CE8: D3AC5000 000373BE D3AD8C24 84923968
	buffer_load_dwordx4 v[152:155], v212, s[16:19], 0 offen    // 000000003CF8: E05C1000 800498D4
	v_mfma_scale_f32_16x16x128_f8f6f4 a[40:43], v[108:111], v[24:27], a[40:43], v190, v185 op_sel_hi:[0,0,0] cbsz:4 blgp:4// 000000003D00: D3AC6800 000373BE D3AD8C28 84A2316C
	v_mfma_scale_f32_16x16x128_f8f6f4 a[44:47], v[108:111], v[28:31], a[44:47], v190, v185 op_sel_hi:[0,0,0] cbsz:4 blgp:4// 000000003D10: D3AC5800 000373BE D3AD8C2C 84B2396C
	buffer_load_dwordx4 v[156:159], v213, s[16:19], 0 offen    // 000000003D20: E05C1000 80049CD5
	v_mfma_scale_f32_16x16x128_f8f6f4 a[32:35], v[112:115], v[32:35], a[32:35], v190, v185 op_sel_hi:[0,0,0] cbsz:4 blgp:4// 000000003D28: D3AC6000 180373BE D3AD8C20 84824170
	v_mfma_scale_f32_16x16x128_f8f6f4 a[36:39], v[112:115], v[36:39], a[36:39], v190, v185 op_sel_hi:[0,0,0] cbsz:4 blgp:4// 000000003D38: D3AC5000 180373BE D3AD8C24 84924970
	buffer_load_dwordx4 v[160:163], v212, s[16:19], 0 offen offset:1024// 000000003D48: E05C1400 8004A0D4
	v_mfma_scale_f32_16x16x128_f8f6f4 a[40:43], v[116:119], v[32:35], a[40:43], v190, v185 op_sel_hi:[0,0,0] cbsz:4 blgp:4// 000000003D50: D3AC6800 180373BE D3AD8C28 84A24174
	v_mfma_scale_f32_16x16x128_f8f6f4 a[44:47], v[116:119], v[36:39], a[44:47], v190, v185 op_sel_hi:[0,0,0] cbsz:4 blgp:4// 000000003D60: D3AC5800 180373BE D3AD8C2C 84B24974
	buffer_load_dwordx4 v[164:167], v213, s[16:19], 0 offen offset:1024// 000000003D70: E05C1400 8004A4D5
	buffer_load_dword v193, v221, s[24:27], 0 offen            // 000000003D78: E0501000 8006C1DD
	s_waitcnt vmcnt(10)                                        // 000000003D80: BF8C0F7A
	v_mfma_scale_f32_16x16x128_f8f6f4 a[48:51], v[120:123], v[24:27], a[48:51], v191, v185 op_sel_hi:[0,0,0] cbsz:4 blgp:4// 000000003D84: D3AC6000 000373BF D3AD8C30 84C23178
	s_add_u32 s63, 0x100, s60                                  // 000000003D94: 803F3CFF 00000100
	s_cmp_lt_u32 s63, s61                                      // 000000003D9C: BF0A3D3F
	v_mfma_scale_f32_16x16x128_f8f6f4 a[52:55], v[120:123], v[28:31], a[52:55], v191, v185 op_sel_hi:[0,0,0] cbsz:4 blgp:4// 000000003DA0: D3AC7000 000373BF D3AD8C34 84D23978
	s_cselect_b32 s67, s67, 0                                  // 000000003DB0: 85438043
	buffer_load_dwordx4 v[168:171], v214, s[16:19], 0 offen    // 000000003DB4: E05C1000 8004A8D6
	v_mfma_scale_f32_16x16x128_f8f6f4 a[56:59], v[124:127], v[24:27], a[56:59], v191, v185 op_sel_hi:[0,0,0] cbsz:4 blgp:4// 000000003DBC: D3AC4800 000373BF D3AD8C38 84E2317C
	s_cselect_b32 s69, s69, 0                                  // 000000003DCC: 85458045
	v_mfma_scale_f32_16x16x128_f8f6f4 a[60:63], v[124:127], v[28:31], a[60:63], v191, v185 op_sel_hi:[0,0,0] cbsz:4 blgp:4// 000000003DD0: D3AC5800 000373BF D3AD8C3C 84F2397C
	buffer_load_dwordx4 v[172:175], v215, s[16:19], 0 offen    // 000000003DE0: E05C1000 8004ACD7
	v_mfma_scale_f32_16x16x128_f8f6f4 a[48:51], v[128:131], v[32:35], a[48:51], v191, v185 op_sel_hi:[0,0,0] cbsz:4 blgp:4// 000000003DE8: D3AC6000 180373BF D3AD8C30 84C24180
	v_mfma_scale_f32_16x16x128_f8f6f4 a[52:55], v[128:131], v[36:39], a[52:55], v191, v185 op_sel_hi:[0,0,0] cbsz:4 blgp:4// 000000003DF8: D3AC7000 180373BF D3AD8C34 84D24980
	buffer_load_dwordx4 v[176:179], v214, s[16:19], 0 offen offset:1024// 000000003E08: E05C1400 8004B0D6
	v_mfma_scale_f32_16x16x128_f8f6f4 a[56:59], v[132:135], v[32:35], a[56:59], v191, v185 op_sel_hi:[0,0,0] cbsz:4 blgp:4// 000000003E10: D3AC6800 180373BF D3AD8C38 84E24184
	v_mfma_scale_f32_16x16x128_f8f6f4 a[60:63], v[132:135], v[36:39], a[60:63], v191, v185 op_sel_hi:[0,0,0] cbsz:4 blgp:4// 000000003E20: D3AC3800 180373BF D3AD8C3C 84F24984
	buffer_load_dwordx4 v[180:183], v215, s[16:19], 0 offen offset:1024// 000000003E30: E05C1400 8004B4D7
	buffer_load_dword v194, v222, s[24:27], 0 offen            // 000000003E38: E0501000 8006C2DE
	s_add_u32 s16, s16, s67                                    // 000000003E40: 80104310
	s_addc_u32 s17, 0, s17                                     // 000000003E44: 82111180
	s_sub_u32 s18, s18, s67                                    // 000000003E48: 80924312
	s_add_u32 s24, s24, s69                                    // 000000003E4C: 80184518
	s_addc_u32 s25, 0, s25                                     // 000000003E50: 82191980
	s_sub_u32 s26, s26, s69                                    // 000000003E54: 809A451A
	s_add_u32 m0, 0xc00, s65                                   // 000000003E58: 807C41FF 00000C00
	buffer_load_dword v200, s[20:23], 0 offen lds              // 000000003E60: E0511000 800500C8
	s_waitcnt vmcnt(11)                                        // 000000003E68: BF8C0F7B
	v_mfma_scale_f32_16x16x128_f8f6f4 a[64:67], v[136:139], v[24:27], a[64:67], v192, v185 op_sel_hi:[0,0,0] cbsz:4 blgp:4// 000000003E6C: D3AC6000 000373C0 D3AD8C40 85023188
	v_mfma_scale_f32_16x16x128_f8f6f4 a[68:71], v[136:139], v[28:31], a[68:71], v192, v185 op_sel_hi:[0,0,0] cbsz:4 blgp:4// 000000003E7C: D3AC7000 000373C0 D3AD8C44 85123988
	s_add_u32 m0, 0x3180, s64                                  // 000000003E8C: 807C40FF 00003180
	buffer_load_dwordx4 v195, s[12:15], 0 offen lds            // 000000003E94: E05D1000 800300C3
	v_mfma_scale_f32_16x16x128_f8f6f4 a[72:75], v[140:143], v[24:27], a[72:75], v192, v185 op_sel_hi:[0,0,0] cbsz:4 blgp:4// 000000003E9C: D3AC6800 000373C0 D3AD8C48 8522318C
	s_add_u32 s62, 0x300, s60                                  // 000000003EAC: 803E3CFF 00000300
	s_cmp_lt_u32 s62, s61                                      // 000000003EB4: BF0A3D3E
	v_mfma_scale_f32_16x16x128_f8f6f4 a[76:79], v[140:143], v[28:31], a[76:79], v192, v185 op_sel_hi:[0,0,0] cbsz:4 blgp:4// 000000003EB8: D3AC7800 000373C0 D3AD8C4C 8532398C
	s_cselect_b32 s66, s66, 0                                  // 000000003EC8: 85428042
	buffer_load_dwordx4 v[72:75], v202, s[16:19], 0 offen      // 000000003ECC: E05C1000 800448CA
	v_mfma_scale_f32_16x16x128_f8f6f4 a[64:67], v[144:147], v[32:35], a[64:67], v192, v185 op_sel_hi:[0,0,0] cbsz:4 blgp:4// 000000003ED4: D3AC6000 180373C0 D3AD8C40 85024190
	s_cselect_b32 s68, s68, 0                                  // 000000003EE4: 85448044
	s_add_u32 s12, s12, s66                                    // 000000003EE8: 800C420C
	v_mfma_scale_f32_16x16x128_f8f6f4 a[68:71], v[144:147], v[36:39], a[68:71], v192, v185 op_sel_hi:[0,0,0] cbsz:4 blgp:4// 000000003EEC: D3AC7000 180373C0 D3AD8C44 85124990
	s_addc_u32 s13, 0, s13                                     // 000000003EFC: 820D0D80
	buffer_load_dwordx4 v[76:79], v203, s[16:19], 0 offen      // 000000003F00: E05C1000 80044CCB
	v_mfma_scale_f32_16x16x128_f8f6f4 a[72:75], v[148:151], v[32:35], a[72:75], v192, v185 op_sel_hi:[0,0,0] cbsz:4 blgp:4// 000000003F08: D3AC6800 180373C0 D3AD8C48 85224194
	s_sub_u32 s14, s14, s66                                    // 000000003F18: 808E420E
	s_add_u32 s20, s20, s68                                    // 000000003F1C: 80144414
	v_mfma_scale_f32_16x16x128_f8f6f4 a[76:79], v[148:151], v[36:39], a[76:79], v192, v185 op_sel_hi:[0,0,0] cbsz:4 blgp:4// 000000003F20: D3AC7800 180373C0 D3AD8C4C 85324994
	s_addc_u32 s21, 0, s21                                     // 000000003F30: 82151580
	buffer_load_dwordx4 v[80:83], v202, s[16:19], 0 offen offset:1024// 000000003F34: E05C1400 800450CA
	s_sub_u32 s22, s22, s68                                    // 000000003F3C: 80964416
	buffer_load_dwordx4 v[84:87], v203, s[16:19], 0 offen offset:1024// 000000003F40: E05C1400 800454CB
	buffer_load_dword v188, v216, s[24:27], 0 offen            // 000000003F48: E0501000 8006BCD8
	s_waitcnt vmcnt(12)                                        // 000000003F50: BF8C0F7C
	v_mfma_scale_f32_16x16x128_f8f6f4 a[80:83], v[152:155], v[24:27], a[80:83], v193, v185 op_sel_hi:[0,0,0] cbsz:4 blgp:4// 000000003F54: D3AC6000 000373C1 D3AD8C50 85423198
	v_mfma_scale_f32_16x16x128_f8f6f4 a[84:87], v[152:155], v[28:31], a[84:87], v193, v185 op_sel_hi:[0,0,0] cbsz:4 blgp:4// 000000003F64: D3AC7000 000373C1 D3AD8C54 85523998
	buffer_load_dwordx4 v[88:91], v204, s[16:19], 0 offen      // 000000003F74: E05C1000 800458CC
	v_mfma_scale_f32_16x16x128_f8f6f4 a[88:91], v[156:159], v[24:27], a[88:91], v193, v185 op_sel_hi:[0,0,0] cbsz:4 blgp:4// 000000003F7C: D3AC6800 000373C1 D3AD8C58 8562319C
	v_mfma_scale_f32_16x16x128_f8f6f4 a[92:95], v[156:159], v[28:31], a[92:95], v193, v185 op_sel_hi:[0,0,0] cbsz:4 blgp:4// 000000003F8C: D3AC7800 000373C1 D3AD8C5C 8572399C
	buffer_load_dwordx4 v[92:95], v205, s[16:19], 0 offen      // 000000003F9C: E05C1000 80045CCD
	v_mfma_scale_f32_16x16x128_f8f6f4 a[80:83], v[160:163], v[32:35], a[80:83], v193, v185 op_sel_hi:[0,0,0] cbsz:4 blgp:4// 000000003FA4: D3AC6000 180373C1 D3AD8C50 854241A0
	v_mfma_scale_f32_16x16x128_f8f6f4 a[84:87], v[160:163], v[36:39], a[84:87], v193, v185 op_sel_hi:[0,0,0] cbsz:4 blgp:4// 000000003FB4: D3AC7000 180373C1 D3AD8C54 855249A0
	buffer_load_dwordx4 v[96:99], v204, s[16:19], 0 offen offset:1024// 000000003FC4: E05C1400 800460CC
	v_mfma_scale_f32_16x16x128_f8f6f4 a[88:91], v[164:167], v[32:35], a[88:91], v193, v185 op_sel_hi:[0,0,0] cbsz:4 blgp:4// 000000003FCC: D3AC6800 180373C1 D3AD8C58 856241A4
	v_mfma_scale_f32_16x16x128_f8f6f4 a[92:95], v[164:167], v[36:39], a[92:95], v193, v185 op_sel_hi:[0,0,0] cbsz:4 blgp:4// 000000003FDC: D3AC7800 180373C1 D3AD8C5C 857249A4
	buffer_load_dwordx4 v[100:103], v205, s[16:19], 0 offen offset:1024// 000000003FEC: E05C1400 800464CD
	buffer_load_dword v189, v217, s[24:27], 0 offen            // 000000003FF4: E0501000 8006BDD9
	s_waitcnt vmcnt(10)                                        // 000000003FFC: BF8C0F7A
	s_barrier                                                  // 000000004000: BF8A0000
	v_mfma_scale_f32_16x16x128_f8f6f4 a[96:99], v[168:171], v[24:27], a[96:99], v194, v185 op_sel_hi:[0,0,0] cbsz:4 blgp:4// 000000004004: D3AC0000 000373C2 D3AD8C60 858231A8
	s_addk_i32 s60, 0x100                                      // 000000004014: B73C0100
	ds_read_b128 v[56:59], v199                                // 000000004018: D9FE0000 380000C7
	v_mfma_scale_f32_16x16x128_f8f6f4 a[100:103], v[168:171], v[28:31], a[100:103], v194, v185 op_sel_hi:[0,0,0] cbsz:4 blgp:4// 000000004020: D3AC7000 000373C2 D3AD8C64 859239A8
	s_cmp_lt_i32 s60, s61                                      // 000000004030: BF043D3C
	buffer_load_dwordx4 v[104:107], v206, s[16:19], 0 offen    // 000000004034: E05C1000 800468CE
	v_mfma_scale_f32_16x16x128_f8f6f4 a[104:107], v[172:175], v[24:27], a[104:107], v194, v185 op_sel_hi:[0,0,0] cbsz:4 blgp:4// 00000000403C: D3AC6800 000373C2 D3AD8C68 85A231AC
	ds_read_b128 v[64:67], v199 offset:64                      // 00000000404C: D9FE0040 400000C7
	v_mfma_scale_f32_16x16x128_f8f6f4 a[108:111], v[172:175], v[28:31], a[108:111], v194, v185 op_sel_hi:[0,0,0] cbsz:4 blgp:4// 000000004054: D3AC7800 000373C2 D3AD8C6C 85B239AC
	buffer_load_dwordx4 v[108:111], v207, s[16:19], 0 offen    // 000000004064: E05C1000 80046CCF
	v_mfma_scale_f32_16x16x128_f8f6f4 a[96:99], v[176:179], v[32:35], a[96:99], v194, v185 op_sel_hi:[0,0,0] cbsz:4 blgp:4// 00000000406C: D3AC6000 180373C2 D3AD8C60 858241B0
	ds_read_b128 v[60:63], v199 offset:512                     // 00000000407C: D9FE0200 3C0000C7
	v_mfma_scale_f32_16x16x128_f8f6f4 a[100:103], v[176:179], v[36:39], a[100:103], v194, v185 op_sel_hi:[0,0,0] cbsz:4 blgp:4// 000000004084: D3AC7000 180373C2 D3AD8C64 859249B0
	buffer_load_dwordx4 v[112:115], v206, s[16:19], 0 offen offset:1024// 000000004094: E05C1400 800470CE
	v_mfma_scale_f32_16x16x128_f8f6f4 a[104:107], v[180:183], v[32:35], a[104:107], v194, v185 op_sel_hi:[0,0,0] cbsz:4 blgp:4// 00000000409C: D3AC6800 180373C2 D3AD8C68 85A241B4
	ds_read_b128 v[68:71], v199 offset:576                     // 0000000040AC: D9FE0240 440000C7
	v_mfma_scale_f32_16x16x128_f8f6f4 a[108:111], v[180:183], v[36:39], a[108:111], v194, v185 op_sel_hi:[0,0,0] cbsz:4 blgp:4// 0000000040B4: D3AC7800 180373C2 D3AD8C6C 85B249B4
	buffer_load_dwordx4 v[116:119], v207, s[16:19], 0 offen offset:1024// 0000000040C4: E05C1400 800474CF
	ds_read_b32 v187, v201 offset:3072                         // 0000000040CC: D86C0C00 BB0000C9
	buffer_load_dword v190, v218, s[24:27], 0 offen            // 0000000040D4: E0501000 8006BEDA
	s_cbranch_scc0 label_0D4C                                  // 0000000040DC: BF840814
	s_waitcnt vmcnt(10) lgkmcnt(5)                             // 0000000040E0: BF8C057A
	v_mfma_scale_f32_16x16x128_f8f6f4 a[0:3], v[72:75], v[40:43], a[0:3], v188, v186 op_sel_hi:[0,0,0] cbsz:4 blgp:4// 0000000040E4: D3AC6000 000375BC D3AD8C00 84025148
	v_mfma_scale_f32_16x16x128_f8f6f4 a[4:7], v[72:75], v[44:47], a[4:7], v188, v186 op_sel_hi:[0,0,0] cbsz:4 blgp:4// 0000000040F4: D3AC7000 000375BC D3AD8C04 84125948
	buffer_load_dwordx4 v[120:123], v208, s[16:19], 0 offen    // 000000004104: E05C1000 800478D0
	v_mfma_scale_f32_16x16x128_f8f6f4 a[8:11], v[76:79], v[40:43], a[8:11], v188, v186 op_sel_hi:[0,0,0] cbsz:4 blgp:4// 00000000410C: D3AC6800 000375BC D3AD8C08 8422514C
	v_mfma_scale_f32_16x16x128_f8f6f4 a[12:15], v[76:79], v[44:47], a[12:15], v188, v186 op_sel_hi:[0,0,0] cbsz:4 blgp:4// 00000000411C: D3AC7800 000375BC D3AD8C0C 8432594C
	buffer_load_dwordx4 v[124:127], v209, s[16:19], 0 offen    // 00000000412C: E05C1000 80047CD1
	v_mfma_scale_f32_16x16x128_f8f6f4 a[0:3], v[80:83], v[48:51], a[0:3], v188, v186 op_sel_hi:[0,0,0] cbsz:4 blgp:4// 000000004134: D3AC6000 180375BC D3AD8C00 84026150
	v_mfma_scale_f32_16x16x128_f8f6f4 a[4:7], v[80:83], v[52:55], a[4:7], v188, v186 op_sel_hi:[0,0,0] cbsz:4 blgp:4// 000000004144: D3AC7000 180375BC D3AD8C04 84126950
	buffer_load_dwordx4 v[128:131], v208, s[16:19], 0 offen offset:1024// 000000004154: E05C1400 800480D0
	v_mfma_scale_f32_16x16x128_f8f6f4 a[8:11], v[84:87], v[48:51], a[8:11], v188, v186 op_sel_hi:[0,0,0] cbsz:4 blgp:4// 00000000415C: D3AC6800 180375BC D3AD8C08 84226154
	v_mfma_scale_f32_16x16x128_f8f6f4 a[12:15], v[84:87], v[52:55], a[12:15], v188, v186 op_sel_hi:[0,0,0] cbsz:4 blgp:4// 00000000416C: D3AC7800 180375BC D3AD8C0C 84326954
	buffer_load_dwordx4 v[132:135], v209, s[16:19], 0 offen offset:1024// 00000000417C: E05C1400 800484D1
	buffer_load_dword v191, v219, s[24:27], 0 offen            // 000000004184: E0501000 8006BFDB
	s_waitcnt vmcnt(10)                                        // 00000000418C: BF8C0F7A
	v_mfma_scale_f32_16x16x128_f8f6f4 a[16:19], v[88:91], v[40:43], a[16:19], v189, v186 op_sel_hi:[0,0,0] cbsz:4 blgp:4// 000000004190: D3AC6000 000375BD D3AD8C10 84425158
	v_mfma_scale_f32_16x16x128_f8f6f4 a[20:23], v[88:91], v[44:47], a[20:23], v189, v186 op_sel_hi:[0,0,0] cbsz:4 blgp:4// 0000000041A0: D3AC7000 000375BD D3AD8C14 84525958
	buffer_load_dwordx4 v[136:139], v210, s[16:19], 0 offen    // 0000000041B0: E05C1000 800488D2
	v_mfma_scale_f32_16x16x128_f8f6f4 a[24:27], v[92:95], v[40:43], a[24:27], v189, v186 op_sel_hi:[0,0,0] cbsz:4 blgp:4// 0000000041B8: D3AC6800 000375BD D3AD8C18 8462515C
	v_mfma_scale_f32_16x16x128_f8f6f4 a[28:31], v[92:95], v[44:47], a[28:31], v189, v186 op_sel_hi:[0,0,0] cbsz:4 blgp:4// 0000000041C8: D3AC7800 000375BD D3AD8C1C 8472595C
	buffer_load_dwordx4 v[140:143], v211, s[16:19], 0 offen    // 0000000041D8: E05C1000 80048CD3
	v_mfma_scale_f32_16x16x128_f8f6f4 a[16:19], v[96:99], v[48:51], a[16:19], v189, v186 op_sel_hi:[0,0,0] cbsz:4 blgp:4// 0000000041E0: D3AC6000 180375BD D3AD8C10 84426160
	v_mfma_scale_f32_16x16x128_f8f6f4 a[20:23], v[96:99], v[52:55], a[20:23], v189, v186 op_sel_hi:[0,0,0] cbsz:4 blgp:4// 0000000041F0: D3AC7000 180375BD D3AD8C14 84526960
	buffer_load_dwordx4 v[144:147], v210, s[16:19], 0 offen offset:1024// 000000004200: E05C1400 800490D2
	v_mfma_scale_f32_16x16x128_f8f6f4 a[24:27], v[100:103], v[48:51], a[24:27], v189, v186 op_sel_hi:[0,0,0] cbsz:4 blgp:4// 000000004208: D3AC6800 180375BD D3AD8C18 84626164
	v_mfma_scale_f32_16x16x128_f8f6f4 a[28:31], v[100:103], v[52:55], a[28:31], v189, v186 op_sel_hi:[0,0,0] cbsz:4 blgp:4// 000000004218: D3AC7800 180375BD D3AD8C1C 84726964
	buffer_load_dwordx4 v[148:151], v211, s[16:19], 0 offen offset:1024// 000000004228: E05C1400 800494D3
	buffer_load_dword v192, v220, s[24:27], 0 offen            // 000000004230: E0501000 8006C0DC
	s_waitcnt vmcnt(10)                                        // 000000004238: BF8C0F7A
	v_mfma_scale_f32_16x16x128_f8f6f4 a[32:35], v[104:107], v[40:43], a[32:35], v190, v186 op_sel_hi:[0,0,0] cbsz:4 blgp:4// 00000000423C: D3AC6000 000375BE D3AD8C20 84825168
	v_mfma_scale_f32_16x16x128_f8f6f4 a[36:39], v[104:107], v[44:47], a[36:39], v190, v186 op_sel_hi:[0,0,0] cbsz:4 blgp:4// 00000000424C: D3AC7000 000375BE D3AD8C24 84925968
	buffer_load_dwordx4 v[152:155], v212, s[16:19], 0 offen    // 00000000425C: E05C1000 800498D4
	v_mfma_scale_f32_16x16x128_f8f6f4 a[40:43], v[108:111], v[40:43], a[40:43], v190, v186 op_sel_hi:[0,0,0] cbsz:4 blgp:4// 000000004264: D3AC6800 000375BE D3AD8C28 84A2516C
	v_mfma_scale_f32_16x16x128_f8f6f4 a[44:47], v[108:111], v[44:47], a[44:47], v190, v186 op_sel_hi:[0,0,0] cbsz:4 blgp:4// 000000004274: D3AC7800 000375BE D3AD8C2C 84B2596C
	buffer_load_dwordx4 v[156:159], v213, s[16:19], 0 offen    // 000000004284: E05C1000 80049CD5
	v_mfma_scale_f32_16x16x128_f8f6f4 a[32:35], v[112:115], v[48:51], a[32:35], v190, v186 op_sel_hi:[0,0,0] cbsz:4 blgp:4// 00000000428C: D3AC6000 180375BE D3AD8C20 84826170
	v_mfma_scale_f32_16x16x128_f8f6f4 a[36:39], v[112:115], v[52:55], a[36:39], v190, v186 op_sel_hi:[0,0,0] cbsz:4 blgp:4// 00000000429C: D3AC7000 180375BE D3AD8C24 84926970
	buffer_load_dwordx4 v[160:163], v212, s[16:19], 0 offen offset:1024// 0000000042AC: E05C1400 8004A0D4
	v_mfma_scale_f32_16x16x128_f8f6f4 a[40:43], v[116:119], v[48:51], a[40:43], v190, v186 op_sel_hi:[0,0,0] cbsz:4 blgp:4// 0000000042B4: D3AC6800 180375BE D3AD8C28 84A26174
	v_mfma_scale_f32_16x16x128_f8f6f4 a[44:47], v[116:119], v[52:55], a[44:47], v190, v186 op_sel_hi:[0,0,0] cbsz:4 blgp:4// 0000000042C4: D3AC7800 180375BE D3AD8C2C 84B26974
	buffer_load_dwordx4 v[164:167], v213, s[16:19], 0 offen offset:1024// 0000000042D4: E05C1400 8004A4D5
	buffer_load_dword v193, v221, s[24:27], 0 offen            // 0000000042DC: E0501000 8006C1DD
	s_waitcnt vmcnt(10)                                        // 0000000042E4: BF8C0F7A
	v_mfma_scale_f32_16x16x128_f8f6f4 a[48:51], v[120:123], v[40:43], a[48:51], v191, v186 op_sel_hi:[0,0,0] cbsz:4 blgp:4// 0000000042E8: D3AC6000 000375BF D3AD8C30 84C25178
	s_add_u32 s63, 0x100, s60                                  // 0000000042F8: 803F3CFF 00000100
	s_cmp_lt_u32 s63, s61                                      // 000000004300: BF0A3D3F
	v_mfma_scale_f32_16x16x128_f8f6f4 a[52:55], v[120:123], v[44:47], a[52:55], v191, v186 op_sel_hi:[0,0,0] cbsz:4 blgp:4// 000000004304: D3AC7000 000375BF D3AD8C34 84D25978
	s_cselect_b32 s67, s67, 0                                  // 000000004314: 85438043
	buffer_load_dwordx4 v[168:171], v214, s[16:19], 0 offen    // 000000004318: E05C1000 8004A8D6
	v_mfma_scale_f32_16x16x128_f8f6f4 a[56:59], v[124:127], v[40:43], a[56:59], v191, v186 op_sel_hi:[0,0,0] cbsz:4 blgp:4// 000000004320: D3AC6800 000375BF D3AD8C38 84E2517C
	s_cselect_b32 s69, s69, 0                                  // 000000004330: 85458045
	v_mfma_scale_f32_16x16x128_f8f6f4 a[60:63], v[124:127], v[44:47], a[60:63], v191, v186 op_sel_hi:[0,0,0] cbsz:4 blgp:4// 000000004334: D3AC7800 000375BF D3AD8C3C 84F2597C
	buffer_load_dwordx4 v[172:175], v215, s[16:19], 0 offen    // 000000004344: E05C1000 8004ACD7
	v_mfma_scale_f32_16x16x128_f8f6f4 a[48:51], v[128:131], v[48:51], a[48:51], v191, v186 op_sel_hi:[0,0,0] cbsz:4 blgp:4// 00000000434C: D3AC6000 180375BF D3AD8C30 84C26180
	v_mfma_scale_f32_16x16x128_f8f6f4 a[52:55], v[128:131], v[52:55], a[52:55], v191, v186 op_sel_hi:[0,0,0] cbsz:4 blgp:4// 00000000435C: D3AC7000 180375BF D3AD8C34 84D26980
	buffer_load_dwordx4 v[176:179], v214, s[16:19], 0 offen offset:1024// 00000000436C: E05C1400 8004B0D6
	v_mfma_scale_f32_16x16x128_f8f6f4 a[56:59], v[132:135], v[48:51], a[56:59], v191, v186 op_sel_hi:[0,0,0] cbsz:4 blgp:4// 000000004374: D3AC6800 180375BF D3AD8C38 84E26184
	v_mfma_scale_f32_16x16x128_f8f6f4 a[60:63], v[132:135], v[52:55], a[60:63], v191, v186 op_sel_hi:[0,0,0] cbsz:4 blgp:4// 000000004384: D3AC7800 180375BF D3AD8C3C 84F26984
	buffer_load_dwordx4 v[180:183], v215, s[16:19], 0 offen offset:1024// 000000004394: E05C1400 8004B4D7
	buffer_load_dword v194, v222, s[24:27], 0 offen            // 00000000439C: E0501000 8006C2DE
	s_add_u32 s16, s16, s67                                    // 0000000043A4: 80104310
	s_addc_u32 s17, 0, s17                                     // 0000000043A8: 82111180
	s_sub_u32 s18, s18, s67                                    // 0000000043AC: 80924312
	s_add_u32 s24, s24, s69                                    // 0000000043B0: 80184518
	s_addc_u32 s25, 0, s25                                     // 0000000043B4: 82191980
	s_sub_u32 s26, s26, s69                                    // 0000000043B8: 809A451A
	s_add_u32 m0, 0, s65                                       // 0000000043BC: 807C4180
	buffer_load_dword v200, s[20:23], 0 offen lds              // 0000000043C0: E0511000 800500C8
	s_waitcnt vmcnt(11)                                        // 0000000043C8: BF8C0F7B
	v_mfma_scale_f32_16x16x128_f8f6f4 a[64:67], v[136:139], v[40:43], a[64:67], v192, v186 op_sel_hi:[0,0,0] cbsz:4 blgp:4// 0000000043CC: D3AC6000 000375C0 D3AD8C40 85025188
	v_mfma_scale_f32_16x16x128_f8f6f4 a[68:71], v[136:139], v[44:47], a[68:71], v192, v186 op_sel_hi:[0,0,0] cbsz:4 blgp:4// 0000000043DC: D3AC7000 000375C0 D3AD8C44 85125988
	s_add_u32 m0, 0, s64                                       // 0000000043EC: 807C4080
	buffer_load_dwordx4 v195, s[12:15], 0 offen lds            // 0000000043F0: E05D1000 800300C3
	v_mfma_scale_f32_16x16x128_f8f6f4 a[72:75], v[140:143], v[40:43], a[72:75], v192, v186 op_sel_hi:[0,0,0] cbsz:4 blgp:4// 0000000043F8: D3AC6800 000375C0 D3AD8C48 8522518C
	s_add_u32 s62, 0x300, s60                                  // 000000004408: 803E3CFF 00000300
	s_cmp_lt_u32 s62, s61                                      // 000000004410: BF0A3D3E
	v_mfma_scale_f32_16x16x128_f8f6f4 a[76:79], v[140:143], v[44:47], a[76:79], v192, v186 op_sel_hi:[0,0,0] cbsz:4 blgp:4// 000000004414: D3AC7800 000375C0 D3AD8C4C 8532598C
	s_cselect_b32 s66, s66, 0                                  // 000000004424: 85428042
	buffer_load_dwordx4 v[72:75], v202, s[16:19], 0 offen      // 000000004428: E05C1000 800448CA
	v_mfma_scale_f32_16x16x128_f8f6f4 a[64:67], v[144:147], v[48:51], a[64:67], v192, v186 op_sel_hi:[0,0,0] cbsz:4 blgp:4// 000000004430: D3AC6000 180375C0 D3AD8C40 85026190
	s_cselect_b32 s68, s68, 0                                  // 000000004440: 85448044
	s_add_u32 s12, s12, s66                                    // 000000004444: 800C420C
	v_mfma_scale_f32_16x16x128_f8f6f4 a[68:71], v[144:147], v[52:55], a[68:71], v192, v186 op_sel_hi:[0,0,0] cbsz:4 blgp:4// 000000004448: D3AC7000 180375C0 D3AD8C44 85126990
	s_addc_u32 s13, 0, s13                                     // 000000004458: 820D0D80
	buffer_load_dwordx4 v[76:79], v203, s[16:19], 0 offen      // 00000000445C: E05C1000 80044CCB
	v_mfma_scale_f32_16x16x128_f8f6f4 a[72:75], v[148:151], v[48:51], a[72:75], v192, v186 op_sel_hi:[0,0,0] cbsz:4 blgp:4// 000000004464: D3AC6800 180375C0 D3AD8C48 85226194
	s_sub_u32 s14, s14, s66                                    // 000000004474: 808E420E
	s_add_u32 s20, s20, s68                                    // 000000004478: 80144414
	v_mfma_scale_f32_16x16x128_f8f6f4 a[76:79], v[148:151], v[52:55], a[76:79], v192, v186 op_sel_hi:[0,0,0] cbsz:4 blgp:4// 00000000447C: D3AC7800 180375C0 D3AD8C4C 85326994
	s_addc_u32 s21, 0, s21                                     // 00000000448C: 82151580
	buffer_load_dwordx4 v[80:83], v202, s[16:19], 0 offen offset:1024// 000000004490: E05C1400 800450CA
	s_sub_u32 s22, s22, s68                                    // 000000004498: 80964416
	buffer_load_dwordx4 v[84:87], v203, s[16:19], 0 offen offset:1024// 00000000449C: E05C1400 800454CB
	buffer_load_dword v188, v216, s[24:27], 0 offen            // 0000000044A4: E0501000 8006BCD8
	s_waitcnt vmcnt(12)                                        // 0000000044AC: BF8C0F7C
	v_mfma_scale_f32_16x16x128_f8f6f4 a[80:83], v[152:155], v[40:43], a[80:83], v193, v186 op_sel_hi:[0,0,0] cbsz:4 blgp:4// 0000000044B0: D3AC6000 000375C1 D3AD8C50 85425198
	v_mfma_scale_f32_16x16x128_f8f6f4 a[84:87], v[152:155], v[44:47], a[84:87], v193, v186 op_sel_hi:[0,0,0] cbsz:4 blgp:4// 0000000044C0: D3AC7000 000375C1 D3AD8C54 85525998
	buffer_load_dwordx4 v[88:91], v204, s[16:19], 0 offen      // 0000000044D0: E05C1000 800458CC
	v_mfma_scale_f32_16x16x128_f8f6f4 a[88:91], v[156:159], v[40:43], a[88:91], v193, v186 op_sel_hi:[0,0,0] cbsz:4 blgp:4// 0000000044D8: D3AC6800 000375C1 D3AD8C58 8562519C
	v_mfma_scale_f32_16x16x128_f8f6f4 a[92:95], v[156:159], v[44:47], a[92:95], v193, v186 op_sel_hi:[0,0,0] cbsz:4 blgp:4// 0000000044E8: D3AC7800 000375C1 D3AD8C5C 8572599C
	buffer_load_dwordx4 v[92:95], v205, s[16:19], 0 offen      // 0000000044F8: E05C1000 80045CCD
	v_mfma_scale_f32_16x16x128_f8f6f4 a[80:83], v[160:163], v[48:51], a[80:83], v193, v186 op_sel_hi:[0,0,0] cbsz:4 blgp:4// 000000004500: D3AC6000 180375C1 D3AD8C50 854261A0
	v_mfma_scale_f32_16x16x128_f8f6f4 a[84:87], v[160:163], v[52:55], a[84:87], v193, v186 op_sel_hi:[0,0,0] cbsz:4 blgp:4// 000000004510: D3AC7000 180375C1 D3AD8C54 855269A0
	buffer_load_dwordx4 v[96:99], v204, s[16:19], 0 offen offset:1024// 000000004520: E05C1400 800460CC
	v_mfma_scale_f32_16x16x128_f8f6f4 a[88:91], v[164:167], v[48:51], a[88:91], v193, v186 op_sel_hi:[0,0,0] cbsz:4 blgp:4// 000000004528: D3AC6800 180375C1 D3AD8C58 856261A4
	v_mfma_scale_f32_16x16x128_f8f6f4 a[92:95], v[164:167], v[52:55], a[92:95], v193, v186 op_sel_hi:[0,0,0] cbsz:4 blgp:4// 000000004538: D3AC7800 180375C1 D3AD8C5C 857269A4
	buffer_load_dwordx4 v[100:103], v205, s[16:19], 0 offen offset:1024// 000000004548: E05C1400 800464CD
	buffer_load_dword v189, v217, s[24:27], 0 offen            // 000000004550: E0501000 8006BDD9
	s_waitcnt vmcnt(10)                                        // 000000004558: BF8C0F7A
	s_barrier                                                  // 00000000455C: BF8A0000
	v_mfma_scale_f32_16x16x128_f8f6f4 a[96:99], v[168:171], v[40:43], a[96:99], v194, v186 op_sel_hi:[0,0,0] cbsz:4 blgp:4// 000000004560: D3AC6000 000375C2 D3AD8C60 858251A8
	s_addk_i32 s60, 0x100                                      // 000000004570: B73C0100
	ds_read_b128 v[8:11], v196                                 // 000000004574: D9FE0000 080000C4
	v_mfma_scale_f32_16x16x128_f8f6f4 a[100:103], v[168:171], v[44:47], a[100:103], v194, v186 op_sel_hi:[0,0,0] cbsz:4 blgp:4// 00000000457C: D3AC7000 000375C2 D3AD8C64 859259A8
	s_cmp_lt_i32 s60, s61                                      // 00000000458C: BF043D3C
	buffer_load_dwordx4 v[104:107], v206, s[16:19], 0 offen    // 000000004590: E05C1000 800468CE
	v_mfma_scale_f32_16x16x128_f8f6f4 a[104:107], v[172:175], v[40:43], a[104:107], v194, v186 op_sel_hi:[0,0,0] cbsz:4 blgp:4// 000000004598: D3AC6800 000375C2 D3AD8C68 85A251AC
	ds_read_b128 v[16:19], v196 offset:64                      // 0000000045A8: D9FE0040 100000C4
	v_mfma_scale_f32_16x16x128_f8f6f4 a[108:111], v[172:175], v[44:47], a[108:111], v194, v186 op_sel_hi:[0,0,0] cbsz:4 blgp:4// 0000000045B0: D3AC7800 000375C2 D3AD8C6C 85B259AC
	buffer_load_dwordx4 v[108:111], v207, s[16:19], 0 offen    // 0000000045C0: E05C1000 80046CCF
	v_mfma_scale_f32_16x16x128_f8f6f4 a[96:99], v[176:179], v[48:51], a[96:99], v194, v186 op_sel_hi:[0,0,0] cbsz:4 blgp:4// 0000000045C8: D3AC6000 180375C2 D3AD8C60 858261B0
	ds_read_b128 v[12:15], v196 offset:512                     // 0000000045D8: D9FE0200 0C0000C4
	v_mfma_scale_f32_16x16x128_f8f6f4 a[100:103], v[176:179], v[52:55], a[100:103], v194, v186 op_sel_hi:[0,0,0] cbsz:4 blgp:4// 0000000045E0: D3AC3000 180375C2 D3AD8C64 859269B0
	buffer_load_dwordx4 v[112:115], v206, s[16:19], 0 offen offset:1024// 0000000045F0: E05C1400 800470CE
	v_mfma_scale_f32_16x16x128_f8f6f4 a[104:107], v[180:183], v[48:51], a[104:107], v194, v186 op_sel_hi:[0,0,0] cbsz:4 blgp:4// 0000000045F8: D3AC2800 180375C2 D3AD8C68 85A261B4
	ds_read_b128 v[20:23], v196 offset:576                     // 000000004608: D9FE0240 140000C4
	v_mfma_scale_f32_16x16x128_f8f6f4 a[108:111], v[180:183], v[52:55], a[108:111], v194, v186 op_sel_hi:[0,0,0] cbsz:4 blgp:4// 000000004610: D3AC7800 180375C2 D3AD8C6C 85B269B4
	buffer_load_dwordx4 v[116:119], v207, s[16:19], 0 offen offset:1024// 000000004620: E05C1400 800474CF
	ds_read_b32 v184, v201                                     // 000000004628: D86C0000 B80000C9
	buffer_load_dword v190, v218, s[24:27], 0 offen            // 000000004630: E0501000 8006BEDA
	s_cbranch_scc0 label_0D4C                                  // 000000004638: BF8406BD
	s_waitcnt vmcnt(10) lgkmcnt(5)                             // 00000000463C: BF8C057A
	v_mfma_scale_f32_16x16x128_f8f6f4 a[0:3], v[72:75], v[56:59], a[0:3], v188, v187 op_sel_hi:[0,0,0] cbsz:4 blgp:4// 000000004640: D3AC6000 000377BC D3AD8C00 84027148
	v_mfma_scale_f32_16x16x128_f8f6f4 a[4:7], v[72:75], v[60:63], a[4:7], v188, v187 op_sel_hi:[0,0,0] cbsz:4 blgp:4// 000000004650: D3AC1000 000377BC D3AD8C04 84127948
	buffer_load_dwordx4 v[120:123], v208, s[16:19], 0 offen    // 000000004660: E05C1000 800478D0
	v_mfma_scale_f32_16x16x128_f8f6f4 a[8:11], v[76:79], v[56:59], a[8:11], v188, v187 op_sel_hi:[0,0,0] cbsz:4 blgp:4// 000000004668: D3AC6800 000377BC D3AD8C08 8422714C
	v_mfma_scale_f32_16x16x128_f8f6f4 a[12:15], v[76:79], v[60:63], a[12:15], v188, v187 op_sel_hi:[0,0,0] cbsz:4 blgp:4// 000000004678: D3AC7800 000377BC D3AD8C0C 8432794C
	buffer_load_dwordx4 v[124:127], v209, s[16:19], 0 offen    // 000000004688: E05C1000 80047CD1
	v_mfma_scale_f32_16x16x128_f8f6f4 a[0:3], v[80:83], v[64:67], a[0:3], v188, v187 op_sel_hi:[0,0,0] cbsz:4 blgp:4// 000000004690: D3AC6000 180377BC D3AD8C00 84028150
	v_mfma_scale_f32_16x16x128_f8f6f4 a[4:7], v[80:83], v[68:71], a[4:7], v188, v187 op_sel_hi:[0,0,0] cbsz:4 blgp:4// 0000000046A0: D3AC7000 180377BC D3AD8C04 84128950
	buffer_load_dwordx4 v[128:131], v208, s[16:19], 0 offen offset:1024// 0000000046B0: E05C1400 800480D0
	v_mfma_scale_f32_16x16x128_f8f6f4 a[8:11], v[84:87], v[64:67], a[8:11], v188, v187 op_sel_hi:[0,0,0] cbsz:4 blgp:4// 0000000046B8: D3AC6800 180377BC D3AD8C08 84228154
	v_mfma_scale_f32_16x16x128_f8f6f4 a[12:15], v[84:87], v[68:71], a[12:15], v188, v187 op_sel_hi:[0,0,0] cbsz:4 blgp:4// 0000000046C8: D3AC7800 180377BC D3AD8C0C 84328954
	buffer_load_dwordx4 v[132:135], v209, s[16:19], 0 offen offset:1024// 0000000046D8: E05C1400 800484D1
	buffer_load_dword v191, v219, s[24:27], 0 offen            // 0000000046E0: E0501000 8006BFDB
	s_waitcnt vmcnt(10)                                        // 0000000046E8: BF8C0F7A
	v_mfma_scale_f32_16x16x128_f8f6f4 a[16:19], v[88:91], v[56:59], a[16:19], v189, v187 op_sel_hi:[0,0,0] cbsz:4 blgp:4// 0000000046EC: D3AC6000 000377BD D3AD8C10 84427158
	v_mfma_scale_f32_16x16x128_f8f6f4 a[20:23], v[88:91], v[60:63], a[20:23], v189, v187 op_sel_hi:[0,0,0] cbsz:4 blgp:4// 0000000046FC: D3AC7000 000377BD D3AD8C14 84527958
	buffer_load_dwordx4 v[136:139], v210, s[16:19], 0 offen    // 00000000470C: E05C1000 800488D2
	v_mfma_scale_f32_16x16x128_f8f6f4 a[24:27], v[92:95], v[56:59], a[24:27], v189, v187 op_sel_hi:[0,0,0] cbsz:4 blgp:4// 000000004714: D3AC6800 000377BD D3AD8C18 8462715C
	v_mfma_scale_f32_16x16x128_f8f6f4 a[28:31], v[92:95], v[60:63], a[28:31], v189, v187 op_sel_hi:[0,0,0] cbsz:4 blgp:4// 000000004724: D3AC7800 000377BD D3AD8C1C 8472795C
	buffer_load_dwordx4 v[140:143], v211, s[16:19], 0 offen    // 000000004734: E05C1000 80048CD3
	v_mfma_scale_f32_16x16x128_f8f6f4 a[16:19], v[96:99], v[64:67], a[16:19], v189, v187 op_sel_hi:[0,0,0] cbsz:4 blgp:4// 00000000473C: D3AC6000 180377BD D3AD8C10 84428160
	v_mfma_scale_f32_16x16x128_f8f6f4 a[20:23], v[96:99], v[68:71], a[20:23], v189, v187 op_sel_hi:[0,0,0] cbsz:4 blgp:4// 00000000474C: D3AC7000 180377BD D3AD8C14 84528960
	buffer_load_dwordx4 v[144:147], v210, s[16:19], 0 offen offset:1024// 00000000475C: E05C1400 800490D2
	v_mfma_scale_f32_16x16x128_f8f6f4 a[24:27], v[100:103], v[64:67], a[24:27], v189, v187 op_sel_hi:[0,0,0] cbsz:4 blgp:4// 000000004764: D3AC6800 180377BD D3AD8C18 84628164
	v_mfma_scale_f32_16x16x128_f8f6f4 a[28:31], v[100:103], v[68:71], a[28:31], v189, v187 op_sel_hi:[0,0,0] cbsz:4 blgp:4// 000000004774: D3AC7800 180377BD D3AD8C1C 84728964
	buffer_load_dwordx4 v[148:151], v211, s[16:19], 0 offen offset:1024// 000000004784: E05C1400 800494D3
	buffer_load_dword v192, v220, s[24:27], 0 offen            // 00000000478C: E0501000 8006C0DC
	s_waitcnt vmcnt(10)                                        // 000000004794: BF8C0F7A
	v_mfma_scale_f32_16x16x128_f8f6f4 a[32:35], v[104:107], v[56:59], a[32:35], v190, v187 op_sel_hi:[0,0,0] cbsz:4 blgp:4// 000000004798: D3AC6000 000377BE D3AD8C20 84827168
	v_mfma_scale_f32_16x16x128_f8f6f4 a[36:39], v[104:107], v[60:63], a[36:39], v190, v187 op_sel_hi:[0,0,0] cbsz:4 blgp:4// 0000000047A8: D3AC7000 000377BE D3AD8C24 84927968
	buffer_load_dwordx4 v[152:155], v212, s[16:19], 0 offen    // 0000000047B8: E05C1000 800498D4
	v_mfma_scale_f32_16x16x128_f8f6f4 a[40:43], v[108:111], v[56:59], a[40:43], v190, v187 op_sel_hi:[0,0,0] cbsz:4 blgp:4// 0000000047C0: D3AC6800 000377BE D3AD8C28 84A2716C
	v_mfma_scale_f32_16x16x128_f8f6f4 a[44:47], v[108:111], v[60:63], a[44:47], v190, v187 op_sel_hi:[0,0,0] cbsz:4 blgp:4// 0000000047D0: D3AC7800 000377BE D3AD8C2C 84B2796C
	buffer_load_dwordx4 v[156:159], v213, s[16:19], 0 offen    // 0000000047E0: E05C1000 80049CD5
	v_mfma_scale_f32_16x16x128_f8f6f4 a[32:35], v[112:115], v[64:67], a[32:35], v190, v187 op_sel_hi:[0,0,0] cbsz:4 blgp:4// 0000000047E8: D3AC6000 180377BE D3AD8C20 84828170
	v_mfma_scale_f32_16x16x128_f8f6f4 a[36:39], v[112:115], v[68:71], a[36:39], v190, v187 op_sel_hi:[0,0,0] cbsz:4 blgp:4// 0000000047F8: D3AC7000 180377BE D3AD8C24 84928970
	buffer_load_dwordx4 v[160:163], v212, s[16:19], 0 offen offset:1024// 000000004808: E05C1400 8004A0D4
	v_mfma_scale_f32_16x16x128_f8f6f4 a[40:43], v[116:119], v[64:67], a[40:43], v190, v187 op_sel_hi:[0,0,0] cbsz:4 blgp:4// 000000004810: D3AC6800 180377BE D3AD8C28 84A28174
	v_mfma_scale_f32_16x16x128_f8f6f4 a[44:47], v[116:119], v[68:71], a[44:47], v190, v187 op_sel_hi:[0,0,0] cbsz:4 blgp:4// 000000004820: D3AC7800 180377BE D3AD8C2C 84B28974
	buffer_load_dwordx4 v[164:167], v213, s[16:19], 0 offen offset:1024// 000000004830: E05C1400 8004A4D5
	buffer_load_dword v193, v221, s[24:27], 0 offen            // 000000004838: E0501000 8006C1DD
	s_waitcnt vmcnt(10)                                        // 000000004840: BF8C0F7A
	v_mfma_scale_f32_16x16x128_f8f6f4 a[48:51], v[120:123], v[56:59], a[48:51], v191, v187 op_sel_hi:[0,0,0] cbsz:4 blgp:4// 000000004844: D3AC6000 000377BF D3AD8C30 84C27178
	s_add_u32 s63, 0x100, s60                                  // 000000004854: 803F3CFF 00000100
	s_cmp_lt_u32 s63, s61                                      // 00000000485C: BF0A3D3F
	v_mfma_scale_f32_16x16x128_f8f6f4 a[52:55], v[120:123], v[60:63], a[52:55], v191, v187 op_sel_hi:[0,0,0] cbsz:4 blgp:4// 000000004860: D3AC7000 000377BF D3AD8C34 84D27978
	s_cselect_b32 s67, s67, 0                                  // 000000004870: 85438043
	buffer_load_dwordx4 v[168:171], v214, s[16:19], 0 offen    // 000000004874: E05C1000 8004A8D6
	v_mfma_scale_f32_16x16x128_f8f6f4 a[56:59], v[124:127], v[56:59], a[56:59], v191, v187 op_sel_hi:[0,0,0] cbsz:4 blgp:4// 00000000487C: D3AC6800 000377BF D3AD8C38 84E2717C
	s_cselect_b32 s69, s69, 0                                  // 00000000488C: 85458045
	v_mfma_scale_f32_16x16x128_f8f6f4 a[60:63], v[124:127], v[60:63], a[60:63], v191, v187 op_sel_hi:[0,0,0] cbsz:4 blgp:4// 000000004890: D3AC7800 000377BF D3AD8C3C 84F2797C
	buffer_load_dwordx4 v[172:175], v215, s[16:19], 0 offen    // 0000000048A0: E05C1000 8004ACD7
	v_mfma_scale_f32_16x16x128_f8f6f4 a[48:51], v[128:131], v[64:67], a[48:51], v191, v187 op_sel_hi:[0,0,0] cbsz:4 blgp:4// 0000000048A8: D3AC6000 180377BF D3AD8C30 84C28180
	v_mfma_scale_f32_16x16x128_f8f6f4 a[52:55], v[128:131], v[68:71], a[52:55], v191, v187 op_sel_hi:[0,0,0] cbsz:4 blgp:4// 0000000048B8: D3AC7000 180377BF D3AD8C34 84D28980
	buffer_load_dwordx4 v[176:179], v214, s[16:19], 0 offen offset:1024// 0000000048C8: E05C1400 8004B0D6
	v_mfma_scale_f32_16x16x128_f8f6f4 a[56:59], v[132:135], v[64:67], a[56:59], v191, v187 op_sel_hi:[0,0,0] cbsz:4 blgp:4// 0000000048D0: D3AC6800 180377BF D3AD8C38 84E28184
	v_mfma_scale_f32_16x16x128_f8f6f4 a[60:63], v[132:135], v[68:71], a[60:63], v191, v187 op_sel_hi:[0,0,0] cbsz:4 blgp:4// 0000000048E0: D3AC7800 180377BF D3AD8C3C 84F28984
	buffer_load_dwordx4 v[180:183], v215, s[16:19], 0 offen offset:1024// 0000000048F0: E05C1400 8004B4D7
	buffer_load_dword v194, v222, s[24:27], 0 offen            // 0000000048F8: E0501000 8006C2DE
	s_add_u32 s16, s16, s67                                    // 000000004900: 80104310
	s_addc_u32 s17, 0, s17                                     // 000000004904: 82111180
	s_sub_u32 s18, s18, s67                                    // 000000004908: 80924312
	s_add_u32 s24, s24, s69                                    // 00000000490C: 80184518
	s_addc_u32 s25, 0, s25                                     // 000000004910: 82191980
	s_sub_u32 s26, s26, s69                                    // 000000004914: 809A451A
	s_add_u32 m0, 0x400, s65                                   // 000000004918: 807C41FF 00000400
	buffer_load_dword v200, s[20:23], 0 offen lds              // 000000004920: E0511000 800500C8
	s_waitcnt vmcnt(11)                                        // 000000004928: BF8C0F7B
	v_mfma_scale_f32_16x16x128_f8f6f4 a[64:67], v[136:139], v[56:59], a[64:67], v192, v187 op_sel_hi:[0,0,0] cbsz:4 blgp:4// 00000000492C: D3AC6000 000377C0 D3AD8C40 85027188
	v_mfma_scale_f32_16x16x128_f8f6f4 a[68:71], v[136:139], v[60:63], a[68:71], v192, v187 op_sel_hi:[0,0,0] cbsz:4 blgp:4// 00000000493C: D3AC7000 000377C0 D3AD8C44 85127988
	s_add_u32 m0, 0x1080, s64                                  // 00000000494C: 807C40FF 00001080
	buffer_load_dwordx4 v195, s[12:15], 0 offen lds            // 000000004954: E05D1000 800300C3
	v_mfma_scale_f32_16x16x128_f8f6f4 a[72:75], v[140:143], v[56:59], a[72:75], v192, v187 op_sel_hi:[0,0,0] cbsz:4 blgp:4// 00000000495C: D3AC6800 000377C0 D3AD8C48 8522718C
	s_add_u32 s62, 0x300, s60                                  // 00000000496C: 803E3CFF 00000300
	s_cmp_lt_u32 s62, s61                                      // 000000004974: BF0A3D3E
	v_mfma_scale_f32_16x16x128_f8f6f4 a[76:79], v[140:143], v[60:63], a[76:79], v192, v187 op_sel_hi:[0,0,0] cbsz:4 blgp:4// 000000004978: D3AC7800 000377C0 D3AD8C4C 8532798C
	s_cselect_b32 s66, s66, 0                                  // 000000004988: 85428042
	buffer_load_dwordx4 v[72:75], v202, s[16:19], 0 offen      // 00000000498C: E05C1000 800448CA
	v_mfma_scale_f32_16x16x128_f8f6f4 a[64:67], v[144:147], v[64:67], a[64:67], v192, v187 op_sel_hi:[0,0,0] cbsz:4 blgp:4// 000000004994: D3AC6000 180377C0 D3AD8C40 85028190
	s_cselect_b32 s68, s68, 0                                  // 0000000049A4: 85448044
	s_add_u32 s12, s12, s66                                    // 0000000049A8: 800C420C
	v_mfma_scale_f32_16x16x128_f8f6f4 a[68:71], v[144:147], v[68:71], a[68:71], v192, v187 op_sel_hi:[0,0,0] cbsz:4 blgp:4// 0000000049AC: D3AC7000 180377C0 D3AD8C44 85128990
	s_addc_u32 s13, 0, s13                                     // 0000000049BC: 820D0D80
	buffer_load_dwordx4 v[76:79], v203, s[16:19], 0 offen      // 0000000049C0: E05C1000 80044CCB
	v_mfma_scale_f32_16x16x128_f8f6f4 a[72:75], v[148:151], v[64:67], a[72:75], v192, v187 op_sel_hi:[0,0,0] cbsz:4 blgp:4// 0000000049C8: D3AC6800 180377C0 D3AD8C48 85228194
	s_sub_u32 s14, s14, s66                                    // 0000000049D8: 808E420E
	s_add_u32 s20, s20, s68                                    // 0000000049DC: 80144414
	v_mfma_scale_f32_16x16x128_f8f6f4 a[76:79], v[148:151], v[68:71], a[76:79], v192, v187 op_sel_hi:[0,0,0] cbsz:4 blgp:4// 0000000049E0: D3AC7800 180377C0 D3AD8C4C 85328994
	s_addc_u32 s21, 0, s21                                     // 0000000049F0: 82151580
	buffer_load_dwordx4 v[80:83], v202, s[16:19], 0 offen offset:1024// 0000000049F4: E05C1400 800450CA
	s_sub_u32 s22, s22, s68                                    // 0000000049FC: 80964416
	buffer_load_dwordx4 v[84:87], v203, s[16:19], 0 offen offset:1024// 000000004A00: E05C1400 800454CB
	buffer_load_dword v188, v216, s[24:27], 0 offen            // 000000004A08: E0501000 8006BCD8
	s_waitcnt vmcnt(12)                                        // 000000004A10: BF8C0F7C
	v_mfma_scale_f32_16x16x128_f8f6f4 a[80:83], v[152:155], v[56:59], a[80:83], v193, v187 op_sel_hi:[0,0,0] cbsz:4 blgp:4// 000000004A14: D3AC6000 000377C1 D3AD8C50 85427198
	v_mfma_scale_f32_16x16x128_f8f6f4 a[84:87], v[152:155], v[60:63], a[84:87], v193, v187 op_sel_hi:[0,0,0] cbsz:4 blgp:4// 000000004A24: D3AC7000 000377C1 D3AD8C54 85527998
	buffer_load_dwordx4 v[88:91], v204, s[16:19], 0 offen      // 000000004A34: E05C1000 800458CC
	v_mfma_scale_f32_16x16x128_f8f6f4 a[88:91], v[156:159], v[56:59], a[88:91], v193, v187 op_sel_hi:[0,0,0] cbsz:4 blgp:4// 000000004A3C: D3AC6800 000377C1 D3AD8C58 8562719C
	v_mfma_scale_f32_16x16x128_f8f6f4 a[92:95], v[156:159], v[60:63], a[92:95], v193, v187 op_sel_hi:[0,0,0] cbsz:4 blgp:4// 000000004A4C: D3AC7800 000377C1 D3AD8C5C 8572799C
	buffer_load_dwordx4 v[92:95], v205, s[16:19], 0 offen      // 000000004A5C: E05C1000 80045CCD
	v_mfma_scale_f32_16x16x128_f8f6f4 a[80:83], v[160:163], v[64:67], a[80:83], v193, v187 op_sel_hi:[0,0,0] cbsz:4 blgp:4// 000000004A64: D3AC6000 180377C1 D3AD8C50 854281A0
	v_mfma_scale_f32_16x16x128_f8f6f4 a[84:87], v[160:163], v[68:71], a[84:87], v193, v187 op_sel_hi:[0,0,0] cbsz:4 blgp:4// 000000004A74: D3AC7000 180377C1 D3AD8C54 855289A0
	buffer_load_dwordx4 v[96:99], v204, s[16:19], 0 offen offset:1024// 000000004A84: E05C1400 800460CC
	v_mfma_scale_f32_16x16x128_f8f6f4 a[88:91], v[164:167], v[64:67], a[88:91], v193, v187 op_sel_hi:[0,0,0] cbsz:4 blgp:4// 000000004A8C: D3AC6800 180377C1 D3AD8C58 856281A4
	v_mfma_scale_f32_16x16x128_f8f6f4 a[92:95], v[164:167], v[68:71], a[92:95], v193, v187 op_sel_hi:[0,0,0] cbsz:4 blgp:4// 000000004A9C: D3AC7800 180377C1 D3AD8C5C 857289A4
	buffer_load_dwordx4 v[100:103], v205, s[16:19], 0 offen offset:1024// 000000004AAC: E05C1400 800464CD
	buffer_load_dword v189, v217, s[24:27], 0 offen            // 000000004AB4: E0501000 8006BDD9
	s_waitcnt vmcnt(10)                                        // 000000004ABC: BF8C0F7A
	s_barrier                                                  // 000000004AC0: BF8A0000
	v_mfma_scale_f32_16x16x128_f8f6f4 a[96:99], v[168:171], v[56:59], a[96:99], v194, v187 op_sel_hi:[0,0,0] cbsz:4 blgp:4// 000000004AC4: D3AC6000 000377C2 D3AD8C60 858271A8
	s_addk_i32 s60, 0x100                                      // 000000004AD4: B73C0100
	ds_read_b128 v[24:27], v197                                // 000000004AD8: D9FE0000 180000C5
	v_mfma_scale_f32_16x16x128_f8f6f4 a[100:103], v[168:171], v[60:63], a[100:103], v194, v187 op_sel_hi:[0,0,0] cbsz:4 blgp:4// 000000004AE0: D3AC7000 000377C2 D3AD8C64 859279A8
	s_cmp_lt_i32 s60, s61                                      // 000000004AF0: BF043D3C
	buffer_load_dwordx4 v[104:107], v206, s[16:19], 0 offen    // 000000004AF4: E05C1000 800468CE
	v_mfma_scale_f32_16x16x128_f8f6f4 a[104:107], v[172:175], v[56:59], a[104:107], v194, v187 op_sel_hi:[0,0,0] cbsz:4 blgp:4// 000000004AFC: D3AC6800 000377C2 D3AD8C68 85A271AC
	ds_read_b128 v[32:35], v197 offset:64                      // 000000004B0C: D9FE0040 200000C5
	v_mfma_scale_f32_16x16x128_f8f6f4 a[108:111], v[172:175], v[60:63], a[108:111], v194, v187 op_sel_hi:[0,0,0] cbsz:4 blgp:4// 000000004B14: D3AC7800 000377C2 D3AD8C6C 85B279AC
	buffer_load_dwordx4 v[108:111], v207, s[16:19], 0 offen    // 000000004B24: E05C1000 80046CCF
	v_mfma_scale_f32_16x16x128_f8f6f4 a[96:99], v[176:179], v[64:67], a[96:99], v194, v187 op_sel_hi:[0,0,0] cbsz:4 blgp:4// 000000004B2C: D3AC6000 180377C2 D3AD8C60 858281B0
	ds_read_b128 v[28:31], v197 offset:512                     // 000000004B3C: D9FE0200 1C0000C5
	v_mfma_scale_f32_16x16x128_f8f6f4 a[100:103], v[176:179], v[68:71], a[100:103], v194, v187 op_sel_hi:[0,0,0] cbsz:4 blgp:4// 000000004B44: D3AC7000 180377C2 D3AD8C64 859289B0
	buffer_load_dwordx4 v[112:115], v206, s[16:19], 0 offen offset:1024// 000000004B54: E05C1400 800470CE
	v_mfma_scale_f32_16x16x128_f8f6f4 a[104:107], v[180:183], v[64:67], a[104:107], v194, v187 op_sel_hi:[0,0,0] cbsz:4 blgp:4// 000000004B5C: D3AC6800 180377C2 D3AD8C68 85A281B4
	ds_read_b128 v[36:39], v197 offset:576                     // 000000004B6C: D9FE0240 240000C5
	v_mfma_scale_f32_16x16x128_f8f6f4 a[108:111], v[180:183], v[68:71], a[108:111], v194, v187 op_sel_hi:[0,0,0] cbsz:4 blgp:4// 000000004B74: D3AC7800 180377C2 D3AD8C6C 85B289B4
	buffer_load_dwordx4 v[116:119], v207, s[16:19], 0 offen offset:1024// 000000004B84: E05C1400 800474CF
	ds_read_b32 v185, v201 offset:1024                         // 000000004B8C: D86C0400 B90000C9
	buffer_load_dword v190, v218, s[24:27], 0 offen            // 000000004B94: E0501000 8006BEDA
	s_cbranch_scc0 label_0D4C                                  // 000000004B9C: BF840564
	s_branch label_0286                                        // 000000004BA0: BF82FA9D

0000000000004ba4 <label_07E9>:
	s_waitcnt vmcnt(10) lgkmcnt(5)                             // 000000004BA4: BF8C057A
	v_mfma_scale_f32_16x16x128_f8f6f4 a[0:3], v[72:75], v[8:11], a[0:3], v188, v184 op_sel_hi:[0,0,0] cbsz:4 blgp:4// 000000004BA8: D3AC6000 000371BC D3AD8C00 84021148
	buffer_load_dwordx4 v[120:123], v208, s[16:19], 0 offen    // 000000004BB8: E05C1000 800478D0
	v_mfma_scale_f32_16x16x128_f8f6f4 a[4:7], v[72:75], v[12:15], a[4:7], v188, v184 op_sel_hi:[0,0,0] cbsz:4 blgp:4// 000000004BC0: D3AC7000 000371BC D3AD8C04 84121948
	v_mfma_scale_f32_16x16x128_f8f6f4 a[8:11], v[76:79], v[8:11], a[8:11], v188, v184 op_sel_hi:[0,0,0] cbsz:4 blgp:4// 000000004BD0: D3AC6800 000371BC D3AD8C08 8422114C
	buffer_load_dwordx4 v[124:127], v209, s[16:19], 0 offen    // 000000004BE0: E05C1000 80047CD1
	v_mfma_scale_f32_16x16x128_f8f6f4 a[12:15], v[76:79], v[12:15], a[12:15], v188, v184 op_sel_hi:[0,0,0] cbsz:4 blgp:4// 000000004BE8: D3AC1800 000371BC D3AD8C0C 8432194C
	v_mfma_scale_f32_16x16x128_f8f6f4 a[0:3], v[80:83], v[16:19], a[0:3], v188, v184 op_sel_hi:[0,0,0] cbsz:4 blgp:4// 000000004BF8: D3AC0000 180371BC D3AD8C00 84022150
	buffer_load_dwordx4 v[128:131], v208, s[16:19], 0 offen offset:1024// 000000004C08: E05C1400 800480D0
	v_mfma_scale_f32_16x16x128_f8f6f4 a[4:7], v[80:83], v[20:23], a[4:7], v188, v184 op_sel_hi:[0,0,0] cbsz:4 blgp:4// 000000004C10: D3AC1000 180371BC D3AD8C04 84122950
	v_mfma_scale_f32_16x16x128_f8f6f4 a[8:11], v[84:87], v[16:19], a[8:11], v188, v184 op_sel_hi:[0,0,0] cbsz:4 blgp:4// 000000004C20: D3AC6800 180371BC D3AD8C08 84222154
	buffer_load_dwordx4 v[132:135], v209, s[16:19], 0 offen offset:1024// 000000004C30: E05C1400 800484D1
	v_mfma_scale_f32_16x16x128_f8f6f4 a[12:15], v[84:87], v[20:23], a[12:15], v188, v184 op_sel_hi:[0,0,0] cbsz:4 blgp:4// 000000004C38: D3AC7800 180371BC D3AD8C0C 84322954
	buffer_load_dword v191, v219, s[24:27], 0 offen            // 000000004C48: E0501000 8006BFDB
	s_waitcnt vmcnt(10)                                        // 000000004C50: BF8C0F7A
	v_mfma_scale_f32_16x16x128_f8f6f4 a[16:19], v[88:91], v[8:11], a[16:19], v189, v184 op_sel_hi:[0,0,0] cbsz:4 blgp:4// 000000004C54: D3AC6000 000371BD D3AD8C10 84421158
	buffer_load_dwordx4 v[136:139], v210, s[16:19], 0 offen    // 000000004C64: E05C1000 800488D2
	v_mfma_scale_f32_16x16x128_f8f6f4 a[20:23], v[88:91], v[12:15], a[20:23], v189, v184 op_sel_hi:[0,0,0] cbsz:4 blgp:4// 000000004C6C: D3AC7000 000371BD D3AD8C14 84521958
	v_mfma_scale_f32_16x16x128_f8f6f4 a[24:27], v[92:95], v[8:11], a[24:27], v189, v184 op_sel_hi:[0,0,0] cbsz:4 blgp:4// 000000004C7C: D3AC6800 000371BD D3AD8C18 8462115C
	buffer_load_dwordx4 v[140:143], v211, s[16:19], 0 offen    // 000000004C8C: E05C1000 80048CD3
	v_mfma_scale_f32_16x16x128_f8f6f4 a[28:31], v[92:95], v[12:15], a[28:31], v189, v184 op_sel_hi:[0,0,0] cbsz:4 blgp:4// 000000004C94: D3AC7800 000371BD D3AD8C1C 8472195C
	v_mfma_scale_f32_16x16x128_f8f6f4 a[16:19], v[96:99], v[16:19], a[16:19], v189, v184 op_sel_hi:[0,0,0] cbsz:4 blgp:4// 000000004CA4: D3AC6000 180371BD D3AD8C10 84422160
	buffer_load_dwordx4 v[144:147], v210, s[16:19], 0 offen offset:1024// 000000004CB4: E05C1400 800490D2
	v_mfma_scale_f32_16x16x128_f8f6f4 a[20:23], v[96:99], v[20:23], a[20:23], v189, v184 op_sel_hi:[0,0,0] cbsz:4 blgp:4// 000000004CBC: D3AC7000 180371BD D3AD8C14 84522960
	v_mfma_scale_f32_16x16x128_f8f6f4 a[24:27], v[100:103], v[16:19], a[24:27], v189, v184 op_sel_hi:[0,0,0] cbsz:4 blgp:4// 000000004CCC: D3AC6800 180371BD D3AD8C18 84622164
	buffer_load_dwordx4 v[148:151], v211, s[16:19], 0 offen offset:1024// 000000004CDC: E05C1400 800494D3
	v_mfma_scale_f32_16x16x128_f8f6f4 a[28:31], v[100:103], v[20:23], a[28:31], v189, v184 op_sel_hi:[0,0,0] cbsz:4 blgp:4// 000000004CE4: D3AC7800 180371BD D3AD8C1C 84722964
	buffer_load_dword v192, v220, s[24:27], 0 offen            // 000000004CF4: E0501000 8006C0DC
	s_waitcnt vmcnt(10)                                        // 000000004CFC: BF8C0F7A
	v_mfma_scale_f32_16x16x128_f8f6f4 a[32:35], v[104:107], v[8:11], a[32:35], v190, v184 op_sel_hi:[0,0,0] cbsz:4 blgp:4// 000000004D00: D3AC6000 000371BE D3AD8C20 84821168
	buffer_load_dwordx4 v[152:155], v212, s[16:19], 0 offen    // 000000004D10: E05C1000 800498D4
	v_mfma_scale_f32_16x16x128_f8f6f4 a[36:39], v[104:107], v[12:15], a[36:39], v190, v184 op_sel_hi:[0,0,0] cbsz:4 blgp:4// 000000004D18: D3AC7000 000371BE D3AD8C24 84921968
	v_mfma_scale_f32_16x16x128_f8f6f4 a[40:43], v[108:111], v[8:11], a[40:43], v190, v184 op_sel_hi:[0,0,0] cbsz:4 blgp:4// 000000004D28: D3AC6800 000371BE D3AD8C28 84A2116C
	buffer_load_dwordx4 v[156:159], v213, s[16:19], 0 offen    // 000000004D38: E05C1000 80049CD5
	v_mfma_scale_f32_16x16x128_f8f6f4 a[44:47], v[108:111], v[12:15], a[44:47], v190, v184 op_sel_hi:[0,0,0] cbsz:4 blgp:4// 000000004D40: D3AC7800 000371BE D3AD8C2C 84B2196C
	v_mfma_scale_f32_16x16x128_f8f6f4 a[32:35], v[112:115], v[16:19], a[32:35], v190, v184 op_sel_hi:[0,0,0] cbsz:4 blgp:4// 000000004D50: D3AC6000 180371BE D3AD8C20 84822170
	buffer_load_dwordx4 v[160:163], v212, s[16:19], 0 offen offset:1024// 000000004D60: E05C1400 8004A0D4
	v_mfma_scale_f32_16x16x128_f8f6f4 a[36:39], v[112:115], v[20:23], a[36:39], v190, v184 op_sel_hi:[0,0,0] cbsz:4 blgp:4// 000000004D68: D3AC7000 180371BE D3AD8C24 84922970
	v_mfma_scale_f32_16x16x128_f8f6f4 a[40:43], v[116:119], v[16:19], a[40:43], v190, v184 op_sel_hi:[0,0,0] cbsz:4 blgp:4// 000000004D78: D3AC6800 180371BE D3AD8C28 84A22174
	buffer_load_dwordx4 v[164:167], v213, s[16:19], 0 offen offset:1024// 000000004D88: E05C1400 8004A4D5
	v_mfma_scale_f32_16x16x128_f8f6f4 a[44:47], v[116:119], v[20:23], a[44:47], v190, v184 op_sel_hi:[0,0,0] cbsz:4 blgp:4// 000000004D90: D3AC7800 180371BE D3AD8C2C 84B22974
	buffer_load_dword v193, v221, s[24:27], 0 offen            // 000000004DA0: E0501000 8006C1DD
	s_waitcnt vmcnt(10)                                        // 000000004DA8: BF8C0F7A
	v_mfma_scale_f32_16x16x128_f8f6f4 a[48:51], v[120:123], v[8:11], a[48:51], v191, v184 op_sel_hi:[0,0,0] cbsz:4 blgp:4// 000000004DAC: D3AC6000 000371BF D3AD8C30 84C21178
	s_add_u32 s63, 0x100, s60                                  // 000000004DBC: 803F3CFF 00000100
	buffer_load_dwordx4 v[168:171], v214, s[16:19], 0 offen    // 000000004DC4: E05C1000 8004A8D6
	v_mfma_scale_f32_16x16x128_f8f6f4 a[52:55], v[120:123], v[12:15], a[52:55], v191, v184 op_sel_hi:[0,0,0] cbsz:4 blgp:4// 000000004DCC: D3AC7000 000371BF D3AD8C34 84D21978
	s_cmp_lt_u32 s63, s61                                      // 000000004DDC: BF0A3D3F
	s_cselect_b32 s67, s67, 0                                  // 000000004DE0: 85438043
	v_mfma_scale_f32_16x16x128_f8f6f4 a[56:59], v[124:127], v[8:11], a[56:59], v191, v184 op_sel_hi:[0,0,0] cbsz:4 blgp:4// 000000004DE4: D3AC6800 000371BF D3AD8C38 84E2117C
	s_cselect_b32 s69, s69, 0                                  // 000000004DF4: 85458045
	buffer_load_dwordx4 v[172:175], v215, s[16:19], 0 offen    // 000000004DF8: E05C1000 8004ACD7
	v_mfma_scale_f32_16x16x128_f8f6f4 a[60:63], v[124:127], v[12:15], a[60:63], v191, v184 op_sel_hi:[0,0,0] cbsz:4 blgp:4// 000000004E00: D3AC7800 000371BF D3AD8C3C 84F2197C
	v_mfma_scale_f32_16x16x128_f8f6f4 a[48:51], v[128:131], v[16:19], a[48:51], v191, v184 op_sel_hi:[0,0,0] cbsz:4 blgp:4// 000000004E10: D3AC6000 180371BF D3AD8C30 84C22180
	buffer_load_dwordx4 v[176:179], v214, s[16:19], 0 offen offset:1024// 000000004E20: E05C1400 8004B0D6
	v_mfma_scale_f32_16x16x128_f8f6f4 a[52:55], v[128:131], v[20:23], a[52:55], v191, v184 op_sel_hi:[0,0,0] cbsz:4 blgp:4// 000000004E28: D3AC7000 180371BF D3AD8C34 84D22980
	v_mfma_scale_f32_16x16x128_f8f6f4 a[56:59], v[132:135], v[16:19], a[56:59], v191, v184 op_sel_hi:[0,0,0] cbsz:4 blgp:4// 000000004E38: D3AC6800 180371BF D3AD8C38 84E22184
	buffer_load_dwordx4 v[180:183], v215, s[16:19], 0 offen offset:1024// 000000004E48: E05C1400 8004B4D7
	v_mfma_scale_f32_16x16x128_f8f6f4 a[60:63], v[132:135], v[20:23], a[60:63], v191, v184 op_sel_hi:[0,0,0] cbsz:4 blgp:4// 000000004E50: D3AC7800 180371BF D3AD8C3C 84F22984
	buffer_load_dword v194, v222, s[24:27], 0 offen            // 000000004E60: E0501000 8006C2DE
	s_add_u32 s16, s16, s67                                    // 000000004E68: 80104310
	s_addc_u32 s17, 0, s17                                     // 000000004E6C: 82111180
	s_sub_u32 s18, s18, s67                                    // 000000004E70: 80924312
	s_add_u32 s24, s24, s69                                    // 000000004E74: 80184518
	s_addc_u32 s25, 0, s25                                     // 000000004E78: 82191980
	s_sub_u32 s26, s26, s69                                    // 000000004E7C: 809A451A
	s_add_u32 m0, 0x800, s65                                   // 000000004E80: 807C41FF 00000800
	buffer_load_dword v200, s[20:23], 0 offen lds              // 000000004E88: E0511000 800500C8
	s_waitcnt vmcnt(11)                                        // 000000004E90: BF8C0F7B
	v_mfma_scale_f32_16x16x128_f8f6f4 a[64:67], v[136:139], v[8:11], a[64:67], v192, v184 op_sel_hi:[0,0,0] cbsz:4 blgp:4// 000000004E94: D3AC6000 000371C0 D3AD8C40 85021188
	s_add_u32 m0, 0x2100, s64                                  // 000000004EA4: 807C40FF 00002100
	buffer_load_dwordx4 v195, s[12:15], 0 offen lds            // 000000004EAC: E05D1000 800300C3
	v_mfma_scale_f32_16x16x128_f8f6f4 a[68:71], v[136:139], v[12:15], a[68:71], v192, v184 op_sel_hi:[0,0,0] cbsz:4 blgp:4// 000000004EB4: D3AC7000 000371C0 D3AD8C44 85121988
	s_add_u32 s62, 0x300, s60                                  // 000000004EC4: 803E3CFF 00000300
	s_cmp_lt_u32 s62, s61                                      // 000000004ECC: BF0A3D3E
	v_mfma_scale_f32_16x16x128_f8f6f4 a[72:75], v[140:143], v[8:11], a[72:75], v192, v184 op_sel_hi:[0,0,0] cbsz:4 blgp:4// 000000004ED0: D3AC6800 000371C0 D3AD8C48 8522118C
	s_cselect_b32 s66, s66, 0                                  // 000000004EE0: 85428042
	buffer_load_dwordx4 v[72:75], v202, s[16:19], 0 offen      // 000000004EE4: E05C1000 800448CA
	v_mfma_scale_f32_16x16x128_f8f6f4 a[76:79], v[140:143], v[12:15], a[76:79], v192, v184 op_sel_hi:[0,0,0] cbsz:4 blgp:4// 000000004EEC: D3AC7800 000371C0 D3AD8C4C 8532198C
	s_cselect_b32 s68, s68, 0                                  // 000000004EFC: 85448044
	s_add_u32 s12, s12, s66                                    // 000000004F00: 800C420C
	v_mfma_scale_f32_16x16x128_f8f6f4 a[64:67], v[144:147], v[16:19], a[64:67], v192, v184 op_sel_hi:[0,0,0] cbsz:4 blgp:4// 000000004F04: D3AC6000 180371C0 D3AD8C40 85022190
	s_addc_u32 s13, 0, s13                                     // 000000004F14: 820D0D80
	buffer_load_dwordx4 v[76:79], v203, s[16:19], 0 offen      // 000000004F18: E05C1000 80044CCB
	v_mfma_scale_f32_16x16x128_f8f6f4 a[68:71], v[144:147], v[20:23], a[68:71], v192, v184 op_sel_hi:[0,0,0] cbsz:4 blgp:4// 000000004F20: D3AC7000 180371C0 D3AD8C44 85122990
	s_sub_u32 s14, s14, s66                                    // 000000004F30: 808E420E
	s_add_u32 s20, s20, s68                                    // 000000004F34: 80144414
	v_mfma_scale_f32_16x16x128_f8f6f4 a[72:75], v[148:151], v[16:19], a[72:75], v192, v184 op_sel_hi:[0,0,0] cbsz:4 blgp:4// 000000004F38: D3AC6800 180371C0 D3AD8C48 85222194
	s_addc_u32 s21, 0, s21                                     // 000000004F48: 82151580
	buffer_load_dwordx4 v[80:83], v202, s[16:19], 0 offen offset:1024// 000000004F4C: E05C1400 800450CA
	v_mfma_scale_f32_16x16x128_f8f6f4 a[76:79], v[148:151], v[20:23], a[76:79], v192, v184 op_sel_hi:[0,0,0] cbsz:4 blgp:4// 000000004F54: D3AC7800 180371C0 D3AD8C4C 85322994
	s_sub_u32 s22, s22, s68                                    // 000000004F64: 80964416
	buffer_load_dwordx4 v[84:87], v203, s[16:19], 0 offen offset:1024// 000000004F68: E05C1400 800454CB
	buffer_load_dword v188, v216, s[24:27], 0 offen            // 000000004F70: E0501000 8006BCD8
	s_waitcnt vmcnt(12)                                        // 000000004F78: BF8C0F7C
	v_mfma_scale_f32_16x16x128_f8f6f4 a[80:83], v[152:155], v[8:11], a[80:83], v193, v184 op_sel_hi:[0,0,0] cbsz:4 blgp:4// 000000004F7C: D3AC6000 000371C1 D3AD8C50 85421198
	buffer_load_dwordx4 v[88:91], v204, s[16:19], 0 offen      // 000000004F8C: E05C1000 800458CC
	v_mfma_scale_f32_16x16x128_f8f6f4 a[84:87], v[152:155], v[12:15], a[84:87], v193, v184 op_sel_hi:[0,0,0] cbsz:4 blgp:4// 000000004F94: D3AC7000 000371C1 D3AD8C54 85521998
	v_mfma_scale_f32_16x16x128_f8f6f4 a[88:91], v[156:159], v[8:11], a[88:91], v193, v184 op_sel_hi:[0,0,0] cbsz:4 blgp:4// 000000004FA4: D3AC6800 000371C1 D3AD8C58 8562119C
	buffer_load_dwordx4 v[92:95], v205, s[16:19], 0 offen      // 000000004FB4: E05C1000 80045CCD
	v_mfma_scale_f32_16x16x128_f8f6f4 a[92:95], v[156:159], v[12:15], a[92:95], v193, v184 op_sel_hi:[0,0,0] cbsz:4 blgp:4// 000000004FBC: D3AC7800 000371C1 D3AD8C5C 8572199C
	v_mfma_scale_f32_16x16x128_f8f6f4 a[80:83], v[160:163], v[16:19], a[80:83], v193, v184 op_sel_hi:[0,0,0] cbsz:4 blgp:4// 000000004FCC: D3AC6000 180371C1 D3AD8C50 854221A0
	buffer_load_dwordx4 v[96:99], v204, s[16:19], 0 offen offset:1024// 000000004FDC: E05C1400 800460CC
	v_mfma_scale_f32_16x16x128_f8f6f4 a[84:87], v[160:163], v[20:23], a[84:87], v193, v184 op_sel_hi:[0,0,0] cbsz:4 blgp:4// 000000004FE4: D3AC7000 180371C1 D3AD8C54 855229A0
	v_mfma_scale_f32_16x16x128_f8f6f4 a[88:91], v[164:167], v[16:19], a[88:91], v193, v184 op_sel_hi:[0,0,0] cbsz:4 blgp:4// 000000004FF4: D3AC6800 180371C1 D3AD8C58 856221A4
	buffer_load_dwordx4 v[100:103], v205, s[16:19], 0 offen offset:1024// 000000005004: E05C1400 800464CD
	v_mfma_scale_f32_16x16x128_f8f6f4 a[92:95], v[164:167], v[20:23], a[92:95], v193, v184 op_sel_hi:[0,0,0] cbsz:4 blgp:4// 00000000500C: D3AC7800 180371C1 D3AD8C5C 857229A4
	buffer_load_dword v189, v217, s[24:27], 0 offen            // 00000000501C: E0501000 8006BDD9
	s_waitcnt vmcnt(10)                                        // 000000005024: BF8C0F7A
	s_barrier                                                  // 000000005028: BF8A0000
	v_mfma_scale_f32_16x16x128_f8f6f4 a[96:99], v[168:171], v[8:11], a[96:99], v194, v184 op_sel_hi:[0,0,0] cbsz:4 blgp:4// 00000000502C: D3AC6000 000371C2 D3AD8C60 858211A8
	s_addk_i32 s60, 0x100                                      // 00000000503C: B73C0100
	buffer_load_dwordx4 v[104:107], v206, s[16:19], 0 offen    // 000000005040: E05C1000 800468CE
	v_mfma_scale_f32_16x16x128_f8f6f4 a[100:103], v[168:171], v[12:15], a[100:103], v194, v184 op_sel_hi:[0,0,0] cbsz:4 blgp:4// 000000005048: D3AC7000 000371C2 D3AD8C64 859219A8
	s_cmp_lt_i32 s60, s61                                      // 000000005058: BF043D3C
	ds_read_b128 v[40:43], v198                                // 00000000505C: D9FE0000 280000C6
	v_mfma_scale_f32_16x16x128_f8f6f4 a[104:107], v[172:175], v[8:11], a[104:107], v194, v184 op_sel_hi:[0,0,0] cbsz:4 blgp:4// 000000005064: D3AC6800 000371C2 D3AD8C68 85A211AC
	buffer_load_dwordx4 v[108:111], v207, s[16:19], 0 offen    // 000000005074: E05C1000 80046CCF
	v_mfma_scale_f32_16x16x128_f8f6f4 a[108:111], v[172:175], v[12:15], a[108:111], v194, v184 op_sel_hi:[0,0,0] cbsz:4 blgp:4// 00000000507C: D3AC7800 000371C2 D3AD8C6C 85B219AC
	ds_read_b128 v[48:51], v198 offset:64                      // 00000000508C: D9FE0040 300000C6
	v_mfma_scale_f32_16x16x128_f8f6f4 a[96:99], v[176:179], v[16:19], a[96:99], v194, v184 op_sel_hi:[0,0,0] cbsz:4 blgp:4// 000000005094: D3AC6000 180371C2 D3AD8C60 858221B0
	buffer_load_dwordx4 v[112:115], v206, s[16:19], 0 offen offset:1024// 0000000050A4: E05C1400 800470CE
	v_mfma_scale_f32_16x16x128_f8f6f4 a[100:103], v[176:179], v[20:23], a[100:103], v194, v184 op_sel_hi:[0,0,0] cbsz:4 blgp:4// 0000000050AC: D3AC7000 180371C2 D3AD8C64 859229B0
	ds_read_b128 v[44:47], v198 offset:512                     // 0000000050BC: D9FE0200 2C0000C6
	v_mfma_scale_f32_16x16x128_f8f6f4 a[104:107], v[180:183], v[16:19], a[104:107], v194, v184 op_sel_hi:[0,0,0] cbsz:4 blgp:4// 0000000050C4: D3AC6800 180371C2 D3AD8C68 85A221B4
	buffer_load_dwordx4 v[116:119], v207, s[16:19], 0 offen offset:1024// 0000000050D4: E05C1400 800474CF
	v_mfma_scale_f32_16x16x128_f8f6f4 a[108:111], v[180:183], v[20:23], a[108:111], v194, v184 op_sel_hi:[0,0,0] cbsz:4 blgp:4// 0000000050DC: D3AC7800 180371C2 D3AD8C6C 85B229B4
	ds_read_b128 v[52:55], v198 offset:576                     // 0000000050EC: D9FE0240 340000C6
	ds_read_b32 v186, v201 offset:2048                         // 0000000050F4: D86C0800 BA0000C9
	buffer_load_dword v190, v218, s[24:27], 0 offen            // 0000000050FC: E0501000 8006BEDA
	s_cbranch_scc0 label_0D4C                                  // 000000005104: BF84040A
	s_waitcnt vmcnt(10) lgkmcnt(5)                             // 000000005108: BF8C057A
	v_mfma_scale_f32_16x16x128_f8f6f4 a[0:3], v[72:75], v[24:27], a[0:3], v188, v185 op_sel_hi:[0,0,0] cbsz:4 blgp:4// 00000000510C: D3AC6000 000373BC D3AD8C00 84023148
	buffer_load_dwordx4 v[120:123], v208, s[16:19], 0 offen    // 00000000511C: E05C1000 800478D0
	v_mfma_scale_f32_16x16x128_f8f6f4 a[4:7], v[72:75], v[28:31], a[4:7], v188, v185 op_sel_hi:[0,0,0] cbsz:4 blgp:4// 000000005124: D3AC7000 000373BC D3AD8C04 84123948
	v_mfma_scale_f32_16x16x128_f8f6f4 a[8:11], v[76:79], v[24:27], a[8:11], v188, v185 op_sel_hi:[0,0,0] cbsz:4 blgp:4// 000000005134: D3AC6800 000373BC D3AD8C08 8422314C
	buffer_load_dwordx4 v[124:127], v209, s[16:19], 0 offen    // 000000005144: E05C1000 80047CD1
	v_mfma_scale_f32_16x16x128_f8f6f4 a[12:15], v[76:79], v[28:31], a[12:15], v188, v185 op_sel_hi:[0,0,0] cbsz:4 blgp:4// 00000000514C: D3AC7800 000373BC D3AD8C0C 8432394C
	v_mfma_scale_f32_16x16x128_f8f6f4 a[0:3], v[80:83], v[32:35], a[0:3], v188, v185 op_sel_hi:[0,0,0] cbsz:4 blgp:4// 00000000515C: D3AC6000 180373BC D3AD8C00 84024150
	buffer_load_dwordx4 v[128:131], v208, s[16:19], 0 offen offset:1024// 00000000516C: E05C1400 800480D0
	v_mfma_scale_f32_16x16x128_f8f6f4 a[4:7], v[80:83], v[36:39], a[4:7], v188, v185 op_sel_hi:[0,0,0] cbsz:4 blgp:4// 000000005174: D3AC7000 180373BC D3AD8C04 84124950
	v_mfma_scale_f32_16x16x128_f8f6f4 a[8:11], v[84:87], v[32:35], a[8:11], v188, v185 op_sel_hi:[0,0,0] cbsz:4 blgp:4// 000000005184: D3AC6800 180373BC D3AD8C08 84224154
	buffer_load_dwordx4 v[132:135], v209, s[16:19], 0 offen offset:1024// 000000005194: E05C1400 800484D1
	v_mfma_scale_f32_16x16x128_f8f6f4 a[12:15], v[84:87], v[36:39], a[12:15], v188, v185 op_sel_hi:[0,0,0] cbsz:4 blgp:4// 00000000519C: D3AC7800 180373BC D3AD8C0C 84324954
	buffer_load_dword v191, v219, s[24:27], 0 offen            // 0000000051AC: E0501000 8006BFDB
	s_waitcnt vmcnt(10)                                        // 0000000051B4: BF8C0F7A
	v_mfma_scale_f32_16x16x128_f8f6f4 a[16:19], v[88:91], v[24:27], a[16:19], v189, v185 op_sel_hi:[0,0,0] cbsz:4 blgp:4// 0000000051B8: D3AC6000 000373BD D3AD8C10 84423158
	buffer_load_dwordx4 v[136:139], v210, s[16:19], 0 offen    // 0000000051C8: E05C1000 800488D2
	v_mfma_scale_f32_16x16x128_f8f6f4 a[20:23], v[88:91], v[28:31], a[20:23], v189, v185 op_sel_hi:[0,0,0] cbsz:4 blgp:4// 0000000051D0: D3AC7000 000373BD D3AD8C14 84523958
	v_mfma_scale_f32_16x16x128_f8f6f4 a[24:27], v[92:95], v[24:27], a[24:27], v189, v185 op_sel_hi:[0,0,0] cbsz:4 blgp:4// 0000000051E0: D3AC6800 000373BD D3AD8C18 8462315C
	buffer_load_dwordx4 v[140:143], v211, s[16:19], 0 offen    // 0000000051F0: E05C1000 80048CD3
	v_mfma_scale_f32_16x16x128_f8f6f4 a[28:31], v[92:95], v[28:31], a[28:31], v189, v185 op_sel_hi:[0,0,0] cbsz:4 blgp:4// 0000000051F8: D3AC7800 000373BD D3AD8C1C 8472395C
	v_mfma_scale_f32_16x16x128_f8f6f4 a[16:19], v[96:99], v[32:35], a[16:19], v189, v185 op_sel_hi:[0,0,0] cbsz:4 blgp:4// 000000005208: D3AC6000 180373BD D3AD8C10 84424160
	buffer_load_dwordx4 v[144:147], v210, s[16:19], 0 offen offset:1024// 000000005218: E05C1400 800490D2
	v_mfma_scale_f32_16x16x128_f8f6f4 a[20:23], v[96:99], v[36:39], a[20:23], v189, v185 op_sel_hi:[0,0,0] cbsz:4 blgp:4// 000000005220: D3AC7000 180373BD D3AD8C14 84524960
	v_mfma_scale_f32_16x16x128_f8f6f4 a[24:27], v[100:103], v[32:35], a[24:27], v189, v185 op_sel_hi:[0,0,0] cbsz:4 blgp:4// 000000005230: D3AC6800 180373BD D3AD8C18 84624164
	buffer_load_dwordx4 v[148:151], v211, s[16:19], 0 offen offset:1024// 000000005240: E05C1400 800494D3
	v_mfma_scale_f32_16x16x128_f8f6f4 a[28:31], v[100:103], v[36:39], a[28:31], v189, v185 op_sel_hi:[0,0,0] cbsz:4 blgp:4// 000000005248: D3AC7800 180373BD D3AD8C1C 84724964
	buffer_load_dword v192, v220, s[24:27], 0 offen            // 000000005258: E0501000 8006C0DC
	s_waitcnt vmcnt(10)                                        // 000000005260: BF8C0F7A
	v_mfma_scale_f32_16x16x128_f8f6f4 a[32:35], v[104:107], v[24:27], a[32:35], v190, v185 op_sel_hi:[0,0,0] cbsz:4 blgp:4// 000000005264: D3AC6000 000373BE D3AD8C20 84823168
	buffer_load_dwordx4 v[152:155], v212, s[16:19], 0 offen    // 000000005274: E05C1000 800498D4
	v_mfma_scale_f32_16x16x128_f8f6f4 a[36:39], v[104:107], v[28:31], a[36:39], v190, v185 op_sel_hi:[0,0,0] cbsz:4 blgp:4// 00000000527C: D3AC7000 000373BE D3AD8C24 84923968
	v_mfma_scale_f32_16x16x128_f8f6f4 a[40:43], v[108:111], v[24:27], a[40:43], v190, v185 op_sel_hi:[0,0,0] cbsz:4 blgp:4// 00000000528C: D3AC6800 000373BE D3AD8C28 84A2316C
	buffer_load_dwordx4 v[156:159], v213, s[16:19], 0 offen    // 00000000529C: E05C1000 80049CD5
	v_mfma_scale_f32_16x16x128_f8f6f4 a[44:47], v[108:111], v[28:31], a[44:47], v190, v185 op_sel_hi:[0,0,0] cbsz:4 blgp:4// 0000000052A4: D3AC7800 000373BE D3AD8C2C 84B2396C
	v_mfma_scale_f32_16x16x128_f8f6f4 a[32:35], v[112:115], v[32:35], a[32:35], v190, v185 op_sel_hi:[0,0,0] cbsz:4 blgp:4// 0000000052B4: D3AC6000 180373BE D3AD8C20 84824170
	buffer_load_dwordx4 v[160:163], v212, s[16:19], 0 offen offset:1024// 0000000052C4: E05C1400 8004A0D4
	v_mfma_scale_f32_16x16x128_f8f6f4 a[36:39], v[112:115], v[36:39], a[36:39], v190, v185 op_sel_hi:[0,0,0] cbsz:4 blgp:4// 0000000052CC: D3AC7000 180373BE D3AD8C24 84924970
	v_mfma_scale_f32_16x16x128_f8f6f4 a[40:43], v[116:119], v[32:35], a[40:43], v190, v185 op_sel_hi:[0,0,0] cbsz:4 blgp:4// 0000000052DC: D3AC6800 180373BE D3AD8C28 84A24174
	buffer_load_dwordx4 v[164:167], v213, s[16:19], 0 offen offset:1024// 0000000052EC: E05C1400 8004A4D5
	v_mfma_scale_f32_16x16x128_f8f6f4 a[44:47], v[116:119], v[36:39], a[44:47], v190, v185 op_sel_hi:[0,0,0] cbsz:4 blgp:4// 0000000052F4: D3AC7800 180373BE D3AD8C2C 84B24974
	buffer_load_dword v193, v221, s[24:27], 0 offen            // 000000005304: E0501000 8006C1DD
	s_waitcnt vmcnt(10)                                        // 00000000530C: BF8C0F7A
	v_mfma_scale_f32_16x16x128_f8f6f4 a[48:51], v[120:123], v[24:27], a[48:51], v191, v185 op_sel_hi:[0,0,0] cbsz:4 blgp:4// 000000005310: D3AC6000 000373BF D3AD8C30 84C23178
	s_add_u32 s63, 0x100, s60                                  // 000000005320: 803F3CFF 00000100
	buffer_load_dwordx4 v[168:171], v214, s[16:19], 0 offen    // 000000005328: E05C1000 8004A8D6
	v_mfma_scale_f32_16x16x128_f8f6f4 a[52:55], v[120:123], v[28:31], a[52:55], v191, v185 op_sel_hi:[0,0,0] cbsz:4 blgp:4// 000000005330: D3AC7000 000373BF D3AD8C34 84D23978
	s_cmp_lt_u32 s63, s61                                      // 000000005340: BF0A3D3F
	s_cselect_b32 s67, s67, 0                                  // 000000005344: 85438043
	v_mfma_scale_f32_16x16x128_f8f6f4 a[56:59], v[124:127], v[24:27], a[56:59], v191, v185 op_sel_hi:[0,0,0] cbsz:4 blgp:4// 000000005348: D3AC6800 000373BF D3AD8C38 84E2317C
	s_cselect_b32 s69, s69, 0                                  // 000000005358: 85458045
	buffer_load_dwordx4 v[172:175], v215, s[16:19], 0 offen    // 00000000535C: E05C1000 8004ACD7
	v_mfma_scale_f32_16x16x128_f8f6f4 a[60:63], v[124:127], v[28:31], a[60:63], v191, v185 op_sel_hi:[0,0,0] cbsz:4 blgp:4// 000000005364: D3AC7800 000373BF D3AD8C3C 84F2397C
	v_mfma_scale_f32_16x16x128_f8f6f4 a[48:51], v[128:131], v[32:35], a[48:51], v191, v185 op_sel_hi:[0,0,0] cbsz:4 blgp:4// 000000005374: D3AC6000 180373BF D3AD8C30 84C24180
	buffer_load_dwordx4 v[176:179], v214, s[16:19], 0 offen offset:1024// 000000005384: E05C1400 8004B0D6
	v_mfma_scale_f32_16x16x128_f8f6f4 a[52:55], v[128:131], v[36:39], a[52:55], v191, v185 op_sel_hi:[0,0,0] cbsz:4 blgp:4// 00000000538C: D3AC7000 180373BF D3AD8C34 84D24980
	v_mfma_scale_f32_16x16x128_f8f6f4 a[56:59], v[132:135], v[32:35], a[56:59], v191, v185 op_sel_hi:[0,0,0] cbsz:4 blgp:4// 00000000539C: D3AC6800 180373BF D3AD8C38 84E24184
	buffer_load_dwordx4 v[180:183], v215, s[16:19], 0 offen offset:1024// 0000000053AC: E05C1400 8004B4D7
	v_mfma_scale_f32_16x16x128_f8f6f4 a[60:63], v[132:135], v[36:39], a[60:63], v191, v185 op_sel_hi:[0,0,0] cbsz:4 blgp:4// 0000000053B4: D3AC7800 180373BF D3AD8C3C 84F24984
	buffer_load_dword v194, v222, s[24:27], 0 offen            // 0000000053C4: E0501000 8006C2DE
	s_add_u32 s16, s16, s67                                    // 0000000053CC: 80104310
	s_addc_u32 s17, 0, s17                                     // 0000000053D0: 82111180
	s_sub_u32 s18, s18, s67                                    // 0000000053D4: 80924312
	s_add_u32 s24, s24, s69                                    // 0000000053D8: 80184518
	s_addc_u32 s25, 0, s25                                     // 0000000053DC: 82191980
	s_sub_u32 s26, s26, s69                                    // 0000000053E0: 809A451A
	s_add_u32 m0, 0xc00, s65                                   // 0000000053E4: 807C41FF 00000C00
	buffer_load_dword v200, s[20:23], 0 offen lds              // 0000000053EC: E0511000 800500C8
	s_waitcnt vmcnt(11)                                        // 0000000053F4: BF8C0F7B
	v_mfma_scale_f32_16x16x128_f8f6f4 a[64:67], v[136:139], v[24:27], a[64:67], v192, v185 op_sel_hi:[0,0,0] cbsz:4 blgp:4// 0000000053F8: D3AC6000 000373C0 D3AD8C40 85023188
	s_add_u32 m0, 0x3180, s64                                  // 000000005408: 807C40FF 00003180
	buffer_load_dwordx4 v195, s[12:15], 0 offen lds            // 000000005410: E05D1000 800300C3
	v_mfma_scale_f32_16x16x128_f8f6f4 a[68:71], v[136:139], v[28:31], a[68:71], v192, v185 op_sel_hi:[0,0,0] cbsz:4 blgp:4// 000000005418: D3AC7000 000373C0 D3AD8C44 85123988
	s_add_u32 s62, 0x300, s60                                  // 000000005428: 803E3CFF 00000300
	s_cmp_lt_u32 s62, s61                                      // 000000005430: BF0A3D3E
	v_mfma_scale_f32_16x16x128_f8f6f4 a[72:75], v[140:143], v[24:27], a[72:75], v192, v185 op_sel_hi:[0,0,0] cbsz:4 blgp:4// 000000005434: D3AC6800 000373C0 D3AD8C48 8522318C
	s_cselect_b32 s66, s66, 0                                  // 000000005444: 85428042
	buffer_load_dwordx4 v[72:75], v202, s[16:19], 0 offen      // 000000005448: E05C1000 800448CA
	v_mfma_scale_f32_16x16x128_f8f6f4 a[76:79], v[140:143], v[28:31], a[76:79], v192, v185 op_sel_hi:[0,0,0] cbsz:4 blgp:4// 000000005450: D3AC7800 000373C0 D3AD8C4C 8532398C
	s_cselect_b32 s68, s68, 0                                  // 000000005460: 85448044
	s_add_u32 s12, s12, s66                                    // 000000005464: 800C420C
	v_mfma_scale_f32_16x16x128_f8f6f4 a[64:67], v[144:147], v[32:35], a[64:67], v192, v185 op_sel_hi:[0,0,0] cbsz:4 blgp:4// 000000005468: D3AC6000 180373C0 D3AD8C40 85024190
	s_addc_u32 s13, 0, s13                                     // 000000005478: 820D0D80
	buffer_load_dwordx4 v[76:79], v203, s[16:19], 0 offen      // 00000000547C: E05C1000 80044CCB
	v_mfma_scale_f32_16x16x128_f8f6f4 a[68:71], v[144:147], v[36:39], a[68:71], v192, v185 op_sel_hi:[0,0,0] cbsz:4 blgp:4// 000000005484: D3AC7000 180373C0 D3AD8C44 85124990
	s_sub_u32 s14, s14, s66                                    // 000000005494: 808E420E
	s_add_u32 s20, s20, s68                                    // 000000005498: 80144414
	v_mfma_scale_f32_16x16x128_f8f6f4 a[72:75], v[148:151], v[32:35], a[72:75], v192, v185 op_sel_hi:[0,0,0] cbsz:4 blgp:4// 00000000549C: D3AC6800 180373C0 D3AD8C48 85224194
	s_addc_u32 s21, 0, s21                                     // 0000000054AC: 82151580
	buffer_load_dwordx4 v[80:83], v202, s[16:19], 0 offen offset:1024// 0000000054B0: E05C1400 800450CA
	v_mfma_scale_f32_16x16x128_f8f6f4 a[76:79], v[148:151], v[36:39], a[76:79], v192, v185 op_sel_hi:[0,0,0] cbsz:4 blgp:4// 0000000054B8: D3AC7800 180373C0 D3AD8C4C 85324994
	s_sub_u32 s22, s22, s68                                    // 0000000054C8: 80964416
	buffer_load_dwordx4 v[84:87], v203, s[16:19], 0 offen offset:1024// 0000000054CC: E05C1400 800454CB
	buffer_load_dword v188, v216, s[24:27], 0 offen            // 0000000054D4: E0501000 8006BCD8
	s_waitcnt vmcnt(12)                                        // 0000000054DC: BF8C0F7C
	v_mfma_scale_f32_16x16x128_f8f6f4 a[80:83], v[152:155], v[24:27], a[80:83], v193, v185 op_sel_hi:[0,0,0] cbsz:4 blgp:4// 0000000054E0: D3AC6000 000373C1 D3AD8C50 85423198
	buffer_load_dwordx4 v[88:91], v204, s[16:19], 0 offen      // 0000000054F0: E05C1000 800458CC
	v_mfma_scale_f32_16x16x128_f8f6f4 a[84:87], v[152:155], v[28:31], a[84:87], v193, v185 op_sel_hi:[0,0,0] cbsz:4 blgp:4// 0000000054F8: D3AC7000 000373C1 D3AD8C54 85523998
	v_mfma_scale_f32_16x16x128_f8f6f4 a[88:91], v[156:159], v[24:27], a[88:91], v193, v185 op_sel_hi:[0,0,0] cbsz:4 blgp:4// 000000005508: D3AC6800 000373C1 D3AD8C58 8562319C
	buffer_load_dwordx4 v[92:95], v205, s[16:19], 0 offen      // 000000005518: E05C1000 80045CCD
	v_mfma_scale_f32_16x16x128_f8f6f4 a[92:95], v[156:159], v[28:31], a[92:95], v193, v185 op_sel_hi:[0,0,0] cbsz:4 blgp:4// 000000005520: D3AC7800 000373C1 D3AD8C5C 8572399C
	v_mfma_scale_f32_16x16x128_f8f6f4 a[80:83], v[160:163], v[32:35], a[80:83], v193, v185 op_sel_hi:[0,0,0] cbsz:4 blgp:4// 000000005530: D3AC6000 180373C1 D3AD8C50 854241A0
	buffer_load_dwordx4 v[96:99], v204, s[16:19], 0 offen offset:1024// 000000005540: E05C1400 800460CC
	v_mfma_scale_f32_16x16x128_f8f6f4 a[84:87], v[160:163], v[36:39], a[84:87], v193, v185 op_sel_hi:[0,0,0] cbsz:4 blgp:4// 000000005548: D3AC7000 180373C1 D3AD8C54 855249A0
	v_mfma_scale_f32_16x16x128_f8f6f4 a[88:91], v[164:167], v[32:35], a[88:91], v193, v185 op_sel_hi:[0,0,0] cbsz:4 blgp:4// 000000005558: D3AC6800 180373C1 D3AD8C58 856241A4
	buffer_load_dwordx4 v[100:103], v205, s[16:19], 0 offen offset:1024// 000000005568: E05C1400 800464CD
	v_mfma_scale_f32_16x16x128_f8f6f4 a[92:95], v[164:167], v[36:39], a[92:95], v193, v185 op_sel_hi:[0,0,0] cbsz:4 blgp:4// 000000005570: D3AC7800 180373C1 D3AD8C5C 857249A4
	buffer_load_dword v189, v217, s[24:27], 0 offen            // 000000005580: E0501000 8006BDD9
	s_waitcnt vmcnt(10)                                        // 000000005588: BF8C0F7A
	s_barrier                                                  // 00000000558C: BF8A0000
	v_mfma_scale_f32_16x16x128_f8f6f4 a[96:99], v[168:171], v[24:27], a[96:99], v194, v185 op_sel_hi:[0,0,0] cbsz:4 blgp:4// 000000005590: D3AC6000 000373C2 D3AD8C60 858231A8
	s_addk_i32 s60, 0x100                                      // 0000000055A0: B73C0100
	buffer_load_dwordx4 v[104:107], v206, s[16:19], 0 offen    // 0000000055A4: E05C1000 800468CE
	v_mfma_scale_f32_16x16x128_f8f6f4 a[100:103], v[168:171], v[28:31], a[100:103], v194, v185 op_sel_hi:[0,0,0] cbsz:4 blgp:4// 0000000055AC: D3AC7000 000373C2 D3AD8C64 859239A8
	s_cmp_lt_i32 s60, s61                                      // 0000000055BC: BF043D3C
	ds_read_b128 v[56:59], v199                                // 0000000055C0: D9FE0000 380000C7
	v_mfma_scale_f32_16x16x128_f8f6f4 a[104:107], v[172:175], v[24:27], a[104:107], v194, v185 op_sel_hi:[0,0,0] cbsz:4 blgp:4// 0000000055C8: D3AC6800 000373C2 D3AD8C68 85A231AC
	buffer_load_dwordx4 v[108:111], v207, s[16:19], 0 offen    // 0000000055D8: E05C1000 80046CCF
	v_mfma_scale_f32_16x16x128_f8f6f4 a[108:111], v[172:175], v[28:31], a[108:111], v194, v185 op_sel_hi:[0,0,0] cbsz:4 blgp:4// 0000000055E0: D3AC7800 000373C2 D3AD8C6C 85B239AC
	ds_read_b128 v[64:67], v199 offset:64                      // 0000000055F0: D9FE0040 400000C7
	v_mfma_scale_f32_16x16x128_f8f6f4 a[96:99], v[176:179], v[32:35], a[96:99], v194, v185 op_sel_hi:[0,0,0] cbsz:4 blgp:4// 0000000055F8: D3AC6000 180373C2 D3AD8C60 858241B0
	buffer_load_dwordx4 v[112:115], v206, s[16:19], 0 offen offset:1024// 000000005608: E05C1400 800470CE
	v_mfma_scale_f32_16x16x128_f8f6f4 a[100:103], v[176:179], v[36:39], a[100:103], v194, v185 op_sel_hi:[0,0,0] cbsz:4 blgp:4// 000000005610: D3AC7000 180373C2 D3AD8C64 859249B0
	ds_read_b128 v[60:63], v199 offset:512                     // 000000005620: D9FE0200 3C0000C7
	v_mfma_scale_f32_16x16x128_f8f6f4 a[104:107], v[180:183], v[32:35], a[104:107], v194, v185 op_sel_hi:[0,0,0] cbsz:4 blgp:4// 000000005628: D3AC6800 180373C2 D3AD8C68 85A241B4
	buffer_load_dwordx4 v[116:119], v207, s[16:19], 0 offen offset:1024// 000000005638: E05C1400 800474CF
	v_mfma_scale_f32_16x16x128_f8f6f4 a[108:111], v[180:183], v[36:39], a[108:111], v194, v185 op_sel_hi:[0,0,0] cbsz:4 blgp:4// 000000005640: D3AC7800 180373C2 D3AD8C6C 85B249B4
	ds_read_b128 v[68:71], v199 offset:576                     // 000000005650: D9FE0240 440000C7
	ds_read_b32 v187, v201 offset:3072                         // 000000005658: D86C0C00 BB0000C9
	buffer_load_dword v190, v218, s[24:27], 0 offen            // 000000005660: E0501000 8006BEDA
	s_cbranch_scc0 label_0D4C                                  // 000000005668: BF8402B1
	s_waitcnt vmcnt(10) lgkmcnt(5)                             // 00000000566C: BF8C057A
	v_mfma_scale_f32_16x16x128_f8f6f4 a[0:3], v[72:75], v[40:43], a[0:3], v188, v186 op_sel_hi:[0,0,0] cbsz:4 blgp:4// 000000005670: D3AC6000 000375BC D3AD8C00 84025148
	buffer_load_dwordx4 v[120:123], v208, s[16:19], 0 offen    // 000000005680: E05C1000 800478D0
	v_mfma_scale_f32_16x16x128_f8f6f4 a[4:7], v[72:75], v[44:47], a[4:7], v188, v186 op_sel_hi:[0,0,0] cbsz:4 blgp:4// 000000005688: D3AC7000 000375BC D3AD8C04 84125948
	v_mfma_scale_f32_16x16x128_f8f6f4 a[8:11], v[76:79], v[40:43], a[8:11], v188, v186 op_sel_hi:[0,0,0] cbsz:4 blgp:4// 000000005698: D3AC6800 000375BC D3AD8C08 8422514C
	buffer_load_dwordx4 v[124:127], v209, s[16:19], 0 offen    // 0000000056A8: E05C1000 80047CD1
	v_mfma_scale_f32_16x16x128_f8f6f4 a[12:15], v[76:79], v[44:47], a[12:15], v188, v186 op_sel_hi:[0,0,0] cbsz:4 blgp:4// 0000000056B0: D3AC7800 000375BC D3AD8C0C 8432594C
	v_mfma_scale_f32_16x16x128_f8f6f4 a[0:3], v[80:83], v[48:51], a[0:3], v188, v186 op_sel_hi:[0,0,0] cbsz:4 blgp:4// 0000000056C0: D3AC6000 180375BC D3AD8C00 84026150
	buffer_load_dwordx4 v[128:131], v208, s[16:19], 0 offen offset:1024// 0000000056D0: E05C1400 800480D0
	v_mfma_scale_f32_16x16x128_f8f6f4 a[4:7], v[80:83], v[52:55], a[4:7], v188, v186 op_sel_hi:[0,0,0] cbsz:4 blgp:4// 0000000056D8: D3AC7000 180375BC D3AD8C04 84126950
	v_mfma_scale_f32_16x16x128_f8f6f4 a[8:11], v[84:87], v[48:51], a[8:11], v188, v186 op_sel_hi:[0,0,0] cbsz:4 blgp:4// 0000000056E8: D3AC6800 180375BC D3AD8C08 84226154
	buffer_load_dwordx4 v[132:135], v209, s[16:19], 0 offen offset:1024// 0000000056F8: E05C1400 800484D1
	v_mfma_scale_f32_16x16x128_f8f6f4 a[12:15], v[84:87], v[52:55], a[12:15], v188, v186 op_sel_hi:[0,0,0] cbsz:4 blgp:4// 000000005700: D3AC7800 180375BC D3AD8C0C 84326954
	buffer_load_dword v191, v219, s[24:27], 0 offen            // 000000005710: E0501000 8006BFDB
	s_waitcnt vmcnt(10)                                        // 000000005718: BF8C0F7A
	v_mfma_scale_f32_16x16x128_f8f6f4 a[16:19], v[88:91], v[40:43], a[16:19], v189, v186 op_sel_hi:[0,0,0] cbsz:4 blgp:4// 00000000571C: D3AC6000 000375BD D3AD8C10 84425158
	buffer_load_dwordx4 v[136:139], v210, s[16:19], 0 offen    // 00000000572C: E05C1000 800488D2
	v_mfma_scale_f32_16x16x128_f8f6f4 a[20:23], v[88:91], v[44:47], a[20:23], v189, v186 op_sel_hi:[0,0,0] cbsz:4 blgp:4// 000000005734: D3AC7000 000375BD D3AD8C14 84525958
	v_mfma_scale_f32_16x16x128_f8f6f4 a[24:27], v[92:95], v[40:43], a[24:27], v189, v186 op_sel_hi:[0,0,0] cbsz:4 blgp:4// 000000005744: D3AC6800 000375BD D3AD8C18 8462515C
	buffer_load_dwordx4 v[140:143], v211, s[16:19], 0 offen    // 000000005754: E05C1000 80048CD3
	v_mfma_scale_f32_16x16x128_f8f6f4 a[28:31], v[92:95], v[44:47], a[28:31], v189, v186 op_sel_hi:[0,0,0] cbsz:4 blgp:4// 00000000575C: D3AC7800 000375BD D3AD8C1C 8472595C
	v_mfma_scale_f32_16x16x128_f8f6f4 a[16:19], v[96:99], v[48:51], a[16:19], v189, v186 op_sel_hi:[0,0,0] cbsz:4 blgp:4// 00000000576C: D3AC6000 180375BD D3AD8C10 84426160
	buffer_load_dwordx4 v[144:147], v210, s[16:19], 0 offen offset:1024// 00000000577C: E05C1400 800490D2
	v_mfma_scale_f32_16x16x128_f8f6f4 a[20:23], v[96:99], v[52:55], a[20:23], v189, v186 op_sel_hi:[0,0,0] cbsz:4 blgp:4// 000000005784: D3AC7000 180375BD D3AD8C14 84526960
	v_mfma_scale_f32_16x16x128_f8f6f4 a[24:27], v[100:103], v[48:51], a[24:27], v189, v186 op_sel_hi:[0,0,0] cbsz:4 blgp:4// 000000005794: D3AC6800 180375BD D3AD8C18 84626164
	buffer_load_dwordx4 v[148:151], v211, s[16:19], 0 offen offset:1024// 0000000057A4: E05C1400 800494D3
	v_mfma_scale_f32_16x16x128_f8f6f4 a[28:31], v[100:103], v[52:55], a[28:31], v189, v186 op_sel_hi:[0,0,0] cbsz:4 blgp:4// 0000000057AC: D3AC7800 180375BD D3AD8C1C 84726964
	buffer_load_dword v192, v220, s[24:27], 0 offen            // 0000000057BC: E0501000 8006C0DC
	s_waitcnt vmcnt(10)                                        // 0000000057C4: BF8C0F7A
	v_mfma_scale_f32_16x16x128_f8f6f4 a[32:35], v[104:107], v[40:43], a[32:35], v190, v186 op_sel_hi:[0,0,0] cbsz:4 blgp:4// 0000000057C8: D3AC6000 000375BE D3AD8C20 84825168
	buffer_load_dwordx4 v[152:155], v212, s[16:19], 0 offen    // 0000000057D8: E05C1000 800498D4
	v_mfma_scale_f32_16x16x128_f8f6f4 a[36:39], v[104:107], v[44:47], a[36:39], v190, v186 op_sel_hi:[0,0,0] cbsz:4 blgp:4// 0000000057E0: D3AC7000 000375BE D3AD8C24 84925968
	v_mfma_scale_f32_16x16x128_f8f6f4 a[40:43], v[108:111], v[40:43], a[40:43], v190, v186 op_sel_hi:[0,0,0] cbsz:4 blgp:4// 0000000057F0: D3AC6800 000375BE D3AD8C28 84A2516C
	buffer_load_dwordx4 v[156:159], v213, s[16:19], 0 offen    // 000000005800: E05C1000 80049CD5
	v_mfma_scale_f32_16x16x128_f8f6f4 a[44:47], v[108:111], v[44:47], a[44:47], v190, v186 op_sel_hi:[0,0,0] cbsz:4 blgp:4// 000000005808: D3AC7800 000375BE D3AD8C2C 84B2596C
	v_mfma_scale_f32_16x16x128_f8f6f4 a[32:35], v[112:115], v[48:51], a[32:35], v190, v186 op_sel_hi:[0,0,0] cbsz:4 blgp:4// 000000005818: D3AC6000 180375BE D3AD8C20 84826170
	buffer_load_dwordx4 v[160:163], v212, s[16:19], 0 offen offset:1024// 000000005828: E05C1400 8004A0D4
	v_mfma_scale_f32_16x16x128_f8f6f4 a[36:39], v[112:115], v[52:55], a[36:39], v190, v186 op_sel_hi:[0,0,0] cbsz:4 blgp:4// 000000005830: D3AC7000 180375BE D3AD8C24 84926970
	v_mfma_scale_f32_16x16x128_f8f6f4 a[40:43], v[116:119], v[48:51], a[40:43], v190, v186 op_sel_hi:[0,0,0] cbsz:4 blgp:4// 000000005840: D3AC6800 180375BE D3AD8C28 84A26174
	buffer_load_dwordx4 v[164:167], v213, s[16:19], 0 offen offset:1024// 000000005850: E05C1400 8004A4D5
	v_mfma_scale_f32_16x16x128_f8f6f4 a[44:47], v[116:119], v[52:55], a[44:47], v190, v186 op_sel_hi:[0,0,0] cbsz:4 blgp:4// 000000005858: D3AC7800 180375BE D3AD8C2C 84B26974
	buffer_load_dword v193, v221, s[24:27], 0 offen            // 000000005868: E0501000 8006C1DD
	s_waitcnt vmcnt(10)                                        // 000000005870: BF8C0F7A
	v_mfma_scale_f32_16x16x128_f8f6f4 a[48:51], v[120:123], v[40:43], a[48:51], v191, v186 op_sel_hi:[0,0,0] cbsz:4 blgp:4// 000000005874: D3AC6000 000375BF D3AD8C30 84C25178
	s_add_u32 s63, 0x100, s60                                  // 000000005884: 803F3CFF 00000100
	buffer_load_dwordx4 v[168:171], v214, s[16:19], 0 offen    // 00000000588C: E05C1000 8004A8D6
	v_mfma_scale_f32_16x16x128_f8f6f4 a[52:55], v[120:123], v[44:47], a[52:55], v191, v186 op_sel_hi:[0,0,0] cbsz:4 blgp:4// 000000005894: D3AC7000 000375BF D3AD8C34 84D25978
	s_cmp_lt_u32 s63, s61                                      // 0000000058A4: BF0A3D3F
	s_cselect_b32 s67, s67, 0                                  // 0000000058A8: 85438043
	v_mfma_scale_f32_16x16x128_f8f6f4 a[56:59], v[124:127], v[40:43], a[56:59], v191, v186 op_sel_hi:[0,0,0] cbsz:4 blgp:4// 0000000058AC: D3AC6800 000375BF D3AD8C38 84E2517C
	s_cselect_b32 s69, s69, 0                                  // 0000000058BC: 85458045
	buffer_load_dwordx4 v[172:175], v215, s[16:19], 0 offen    // 0000000058C0: E05C1000 8004ACD7
	v_mfma_scale_f32_16x16x128_f8f6f4 a[60:63], v[124:127], v[44:47], a[60:63], v191, v186 op_sel_hi:[0,0,0] cbsz:4 blgp:4// 0000000058C8: D3AC7800 000375BF D3AD8C3C 84F2597C
	v_mfma_scale_f32_16x16x128_f8f6f4 a[48:51], v[128:131], v[48:51], a[48:51], v191, v186 op_sel_hi:[0,0,0] cbsz:4 blgp:4// 0000000058D8: D3AC6000 180375BF D3AD8C30 84C26180
	buffer_load_dwordx4 v[176:179], v214, s[16:19], 0 offen offset:1024// 0000000058E8: E05C1400 8004B0D6
	v_mfma_scale_f32_16x16x128_f8f6f4 a[52:55], v[128:131], v[52:55], a[52:55], v191, v186 op_sel_hi:[0,0,0] cbsz:4 blgp:4// 0000000058F0: D3AC7000 180375BF D3AD8C34 84D26980
	v_mfma_scale_f32_16x16x128_f8f6f4 a[56:59], v[132:135], v[48:51], a[56:59], v191, v186 op_sel_hi:[0,0,0] cbsz:4 blgp:4// 000000005900: D3AC6800 180375BF D3AD8C38 84E26184
	buffer_load_dwordx4 v[180:183], v215, s[16:19], 0 offen offset:1024// 000000005910: E05C1400 8004B4D7
	v_mfma_scale_f32_16x16x128_f8f6f4 a[60:63], v[132:135], v[52:55], a[60:63], v191, v186 op_sel_hi:[0,0,0] cbsz:4 blgp:4// 000000005918: D3AC7800 180375BF D3AD8C3C 84F26984
	buffer_load_dword v194, v222, s[24:27], 0 offen            // 000000005928: E0501000 8006C2DE
	s_add_u32 s16, s16, s67                                    // 000000005930: 80104310
	s_addc_u32 s17, 0, s17                                     // 000000005934: 82111180
	s_sub_u32 s18, s18, s67                                    // 000000005938: 80924312
	s_add_u32 s24, s24, s69                                    // 00000000593C: 80184518
	s_addc_u32 s25, 0, s25                                     // 000000005940: 82191980
	s_sub_u32 s26, s26, s69                                    // 000000005944: 809A451A
	s_add_u32 m0, 0, s65                                       // 000000005948: 807C4180
	buffer_load_dword v200, s[20:23], 0 offen lds              // 00000000594C: E0511000 800500C8
	s_waitcnt vmcnt(11)                                        // 000000005954: BF8C0F7B
	v_mfma_scale_f32_16x16x128_f8f6f4 a[64:67], v[136:139], v[40:43], a[64:67], v192, v186 op_sel_hi:[0,0,0] cbsz:4 blgp:4// 000000005958: D3AC6000 000375C0 D3AD8C40 85025188
	s_add_u32 m0, 0, s64                                       // 000000005968: 807C4080
	buffer_load_dwordx4 v195, s[12:15], 0 offen lds            // 00000000596C: E05D1000 800300C3
	v_mfma_scale_f32_16x16x128_f8f6f4 a[68:71], v[136:139], v[44:47], a[68:71], v192, v186 op_sel_hi:[0,0,0] cbsz:4 blgp:4// 000000005974: D3AC7000 000375C0 D3AD8C44 85125988
	s_add_u32 s62, 0x300, s60                                  // 000000005984: 803E3CFF 00000300
	s_cmp_lt_u32 s62, s61                                      // 00000000598C: BF0A3D3E
	v_mfma_scale_f32_16x16x128_f8f6f4 a[72:75], v[140:143], v[40:43], a[72:75], v192, v186 op_sel_hi:[0,0,0] cbsz:4 blgp:4// 000000005990: D3AC6800 000375C0 D3AD8C48 8522518C
	s_cselect_b32 s66, s66, 0                                  // 0000000059A0: 85428042
	buffer_load_dwordx4 v[72:75], v202, s[16:19], 0 offen      // 0000000059A4: E05C1000 800448CA
	v_mfma_scale_f32_16x16x128_f8f6f4 a[76:79], v[140:143], v[44:47], a[76:79], v192, v186 op_sel_hi:[0,0,0] cbsz:4 blgp:4// 0000000059AC: D3AC7800 000375C0 D3AD8C4C 8532598C
	s_cselect_b32 s68, s68, 0                                  // 0000000059BC: 85448044
	s_add_u32 s12, s12, s66                                    // 0000000059C0: 800C420C
	v_mfma_scale_f32_16x16x128_f8f6f4 a[64:67], v[144:147], v[48:51], a[64:67], v192, v186 op_sel_hi:[0,0,0] cbsz:4 blgp:4// 0000000059C4: D3AC6000 180375C0 D3AD8C40 85026190
	s_addc_u32 s13, 0, s13                                     // 0000000059D4: 820D0D80
	buffer_load_dwordx4 v[76:79], v203, s[16:19], 0 offen      // 0000000059D8: E05C1000 80044CCB
	v_mfma_scale_f32_16x16x128_f8f6f4 a[68:71], v[144:147], v[52:55], a[68:71], v192, v186 op_sel_hi:[0,0,0] cbsz:4 blgp:4// 0000000059E0: D3AC7000 180375C0 D3AD8C44 85126990
	s_sub_u32 s14, s14, s66                                    // 0000000059F0: 808E420E
	s_add_u32 s20, s20, s68                                    // 0000000059F4: 80144414
	v_mfma_scale_f32_16x16x128_f8f6f4 a[72:75], v[148:151], v[48:51], a[72:75], v192, v186 op_sel_hi:[0,0,0] cbsz:4 blgp:4// 0000000059F8: D3AC6800 180375C0 D3AD8C48 85226194
	s_addc_u32 s21, 0, s21                                     // 000000005A08: 82151580
	buffer_load_dwordx4 v[80:83], v202, s[16:19], 0 offen offset:1024// 000000005A0C: E05C1400 800450CA
	v_mfma_scale_f32_16x16x128_f8f6f4 a[76:79], v[148:151], v[52:55], a[76:79], v192, v186 op_sel_hi:[0,0,0] cbsz:4 blgp:4// 000000005A14: D3AC7800 180375C0 D3AD8C4C 85326994
	s_sub_u32 s22, s22, s68                                    // 000000005A24: 80964416
	buffer_load_dwordx4 v[84:87], v203, s[16:19], 0 offen offset:1024// 000000005A28: E05C1400 800454CB
	buffer_load_dword v188, v216, s[24:27], 0 offen            // 000000005A30: E0501000 8006BCD8
	s_waitcnt vmcnt(12)                                        // 000000005A38: BF8C0F7C
	v_mfma_scale_f32_16x16x128_f8f6f4 a[80:83], v[152:155], v[40:43], a[80:83], v193, v186 op_sel_hi:[0,0,0] cbsz:4 blgp:4// 000000005A3C: D3AC6000 000375C1 D3AD8C50 85425198
	buffer_load_dwordx4 v[88:91], v204, s[16:19], 0 offen      // 000000005A4C: E05C1000 800458CC
	v_mfma_scale_f32_16x16x128_f8f6f4 a[84:87], v[152:155], v[44:47], a[84:87], v193, v186 op_sel_hi:[0,0,0] cbsz:4 blgp:4// 000000005A54: D3AC7000 000375C1 D3AD8C54 85525998
	v_mfma_scale_f32_16x16x128_f8f6f4 a[88:91], v[156:159], v[40:43], a[88:91], v193, v186 op_sel_hi:[0,0,0] cbsz:4 blgp:4// 000000005A64: D3AC6800 000375C1 D3AD8C58 8562519C
	buffer_load_dwordx4 v[92:95], v205, s[16:19], 0 offen      // 000000005A74: E05C1000 80045CCD
	v_mfma_scale_f32_16x16x128_f8f6f4 a[92:95], v[156:159], v[44:47], a[92:95], v193, v186 op_sel_hi:[0,0,0] cbsz:4 blgp:4// 000000005A7C: D3AC7800 000375C1 D3AD8C5C 8572599C
	v_mfma_scale_f32_16x16x128_f8f6f4 a[80:83], v[160:163], v[48:51], a[80:83], v193, v186 op_sel_hi:[0,0,0] cbsz:4 blgp:4// 000000005A8C: D3AC6000 180375C1 D3AD8C50 854261A0
	buffer_load_dwordx4 v[96:99], v204, s[16:19], 0 offen offset:1024// 000000005A9C: E05C1400 800460CC
	v_mfma_scale_f32_16x16x128_f8f6f4 a[84:87], v[160:163], v[52:55], a[84:87], v193, v186 op_sel_hi:[0,0,0] cbsz:4 blgp:4// 000000005AA4: D3AC7000 180375C1 D3AD8C54 855269A0
	v_mfma_scale_f32_16x16x128_f8f6f4 a[88:91], v[164:167], v[48:51], a[88:91], v193, v186 op_sel_hi:[0,0,0] cbsz:4 blgp:4// 000000005AB4: D3AC6800 180375C1 D3AD8C58 856261A4
	buffer_load_dwordx4 v[100:103], v205, s[16:19], 0 offen offset:1024// 000000005AC4: E05C1400 800464CD
	v_mfma_scale_f32_16x16x128_f8f6f4 a[92:95], v[164:167], v[52:55], a[92:95], v193, v186 op_sel_hi:[0,0,0] cbsz:4 blgp:4// 000000005ACC: D3AC7800 180375C1 D3AD8C5C 857269A4
	buffer_load_dword v189, v217, s[24:27], 0 offen            // 000000005ADC: E0501000 8006BDD9
	s_waitcnt vmcnt(10)                                        // 000000005AE4: BF8C0F7A
	s_barrier                                                  // 000000005AE8: BF8A0000
	v_mfma_scale_f32_16x16x128_f8f6f4 a[96:99], v[168:171], v[40:43], a[96:99], v194, v186 op_sel_hi:[0,0,0] cbsz:4 blgp:4// 000000005AEC: D3AC6000 000375C2 D3AD8C60 858251A8
	s_addk_i32 s60, 0x100                                      // 000000005AFC: B73C0100
	buffer_load_dwordx4 v[104:107], v206, s[16:19], 0 offen    // 000000005B00: E05C1000 800468CE
	v_mfma_scale_f32_16x16x128_f8f6f4 a[100:103], v[168:171], v[44:47], a[100:103], v194, v186 op_sel_hi:[0,0,0] cbsz:4 blgp:4// 000000005B08: D3AC7000 000375C2 D3AD8C64 859259A8
	s_cmp_lt_i32 s60, s61                                      // 000000005B18: BF043D3C
	ds_read_b128 v[8:11], v196                                 // 000000005B1C: D9FE0000 080000C4
	v_mfma_scale_f32_16x16x128_f8f6f4 a[104:107], v[172:175], v[40:43], a[104:107], v194, v186 op_sel_hi:[0,0,0] cbsz:4 blgp:4// 000000005B24: D3AC6800 000375C2 D3AD8C68 85A251AC
	buffer_load_dwordx4 v[108:111], v207, s[16:19], 0 offen    // 000000005B34: E05C1000 80046CCF
	v_mfma_scale_f32_16x16x128_f8f6f4 a[108:111], v[172:175], v[44:47], a[108:111], v194, v186 op_sel_hi:[0,0,0] cbsz:4 blgp:4// 000000005B3C: D3AC7800 000375C2 D3AD8C6C 85B259AC
	ds_read_b128 v[16:19], v196 offset:64                      // 000000005B4C: D9FE0040 100000C4
	v_mfma_scale_f32_16x16x128_f8f6f4 a[96:99], v[176:179], v[48:51], a[96:99], v194, v186 op_sel_hi:[0,0,0] cbsz:4 blgp:4// 000000005B54: D3AC6000 180375C2 D3AD8C60 858261B0
	buffer_load_dwordx4 v[112:115], v206, s[16:19], 0 offen offset:1024// 000000005B64: E05C1400 800470CE
	v_mfma_scale_f32_16x16x128_f8f6f4 a[100:103], v[176:179], v[52:55], a[100:103], v194, v186 op_sel_hi:[0,0,0] cbsz:4 blgp:4// 000000005B6C: D3AC7000 180375C2 D3AD8C64 859269B0
	ds_read_b128 v[12:15], v196 offset:512                     // 000000005B7C: D9FE0200 0C0000C4
	v_mfma_scale_f32_16x16x128_f8f6f4 a[104:107], v[180:183], v[48:51], a[104:107], v194, v186 op_sel_hi:[0,0,0] cbsz:4 blgp:4// 000000005B84: D3AC6800 180375C2 D3AD8C68 85A261B4
	buffer_load_dwordx4 v[116:119], v207, s[16:19], 0 offen offset:1024// 000000005B94: E05C1400 800474CF
	v_mfma_scale_f32_16x16x128_f8f6f4 a[108:111], v[180:183], v[52:55], a[108:111], v194, v186 op_sel_hi:[0,0,0] cbsz:4 blgp:4// 000000005B9C: D3AC7800 180375C2 D3AD8C6C 85B269B4
	ds_read_b128 v[20:23], v196 offset:576                     // 000000005BAC: D9FE0240 140000C4
	ds_read_b32 v184, v201                                     // 000000005BB4: D86C0000 B80000C9
	buffer_load_dword v190, v218, s[24:27], 0 offen            // 000000005BBC: E0501000 8006BEDA
	s_cbranch_scc0 label_0D4C                                  // 000000005BC4: BF84015A
	s_waitcnt vmcnt(10) lgkmcnt(5)                             // 000000005BC8: BF8C057A
	v_mfma_scale_f32_16x16x128_f8f6f4 a[0:3], v[72:75], v[56:59], a[0:3], v188, v187 op_sel_hi:[0,0,0] cbsz:4 blgp:4// 000000005BCC: D3AC6000 000377BC D3AD8C00 84027148
	buffer_load_dwordx4 v[120:123], v208, s[16:19], 0 offen    // 000000005BDC: E05C1000 800478D0
	v_mfma_scale_f32_16x16x128_f8f6f4 a[4:7], v[72:75], v[60:63], a[4:7], v188, v187 op_sel_hi:[0,0,0] cbsz:4 blgp:4// 000000005BE4: D3AC7000 000377BC D3AD8C04 84127948
	v_mfma_scale_f32_16x16x128_f8f6f4 a[8:11], v[76:79], v[56:59], a[8:11], v188, v187 op_sel_hi:[0,0,0] cbsz:4 blgp:4// 000000005BF4: D3AC6800 000377BC D3AD8C08 8422714C
	buffer_load_dwordx4 v[124:127], v209, s[16:19], 0 offen    // 000000005C04: E05C1000 80047CD1
	v_mfma_scale_f32_16x16x128_f8f6f4 a[12:15], v[76:79], v[60:63], a[12:15], v188, v187 op_sel_hi:[0,0,0] cbsz:4 blgp:4// 000000005C0C: D3AC7800 000377BC D3AD8C0C 8432794C
	v_mfma_scale_f32_16x16x128_f8f6f4 a[0:3], v[80:83], v[64:67], a[0:3], v188, v187 op_sel_hi:[0,0,0] cbsz:4 blgp:4// 000000005C1C: D3AC6000 180377BC D3AD8C00 84028150
	buffer_load_dwordx4 v[128:131], v208, s[16:19], 0 offen offset:1024// 000000005C2C: E05C1400 800480D0
	v_mfma_scale_f32_16x16x128_f8f6f4 a[4:7], v[80:83], v[68:71], a[4:7], v188, v187 op_sel_hi:[0,0,0] cbsz:4 blgp:4// 000000005C34: D3AC7000 180377BC D3AD8C04 84128950
	v_mfma_scale_f32_16x16x128_f8f6f4 a[8:11], v[84:87], v[64:67], a[8:11], v188, v187 op_sel_hi:[0,0,0] cbsz:4 blgp:4// 000000005C44: D3AC6800 180377BC D3AD8C08 84228154
	buffer_load_dwordx4 v[132:135], v209, s[16:19], 0 offen offset:1024// 000000005C54: E05C1400 800484D1
	v_mfma_scale_f32_16x16x128_f8f6f4 a[12:15], v[84:87], v[68:71], a[12:15], v188, v187 op_sel_hi:[0,0,0] cbsz:4 blgp:4// 000000005C5C: D3AC7800 180377BC D3AD8C0C 84328954
	buffer_load_dword v191, v219, s[24:27], 0 offen            // 000000005C6C: E0501000 8006BFDB
	s_waitcnt vmcnt(10)                                        // 000000005C74: BF8C0F7A
	v_mfma_scale_f32_16x16x128_f8f6f4 a[16:19], v[88:91], v[56:59], a[16:19], v189, v187 op_sel_hi:[0,0,0] cbsz:4 blgp:4// 000000005C78: D3AC6000 000377BD D3AD8C10 84427158
	buffer_load_dwordx4 v[136:139], v210, s[16:19], 0 offen    // 000000005C88: E05C1000 800488D2
	v_mfma_scale_f32_16x16x128_f8f6f4 a[20:23], v[88:91], v[60:63], a[20:23], v189, v187 op_sel_hi:[0,0,0] cbsz:4 blgp:4// 000000005C90: D3AC7000 000377BD D3AD8C14 84527958
	v_mfma_scale_f32_16x16x128_f8f6f4 a[24:27], v[92:95], v[56:59], a[24:27], v189, v187 op_sel_hi:[0,0,0] cbsz:4 blgp:4// 000000005CA0: D3AC6800 000377BD D3AD8C18 8462715C
	buffer_load_dwordx4 v[140:143], v211, s[16:19], 0 offen    // 000000005CB0: E05C1000 80048CD3
	v_mfma_scale_f32_16x16x128_f8f6f4 a[28:31], v[92:95], v[60:63], a[28:31], v189, v187 op_sel_hi:[0,0,0] cbsz:4 blgp:4// 000000005CB8: D3AC7800 000377BD D3AD8C1C 8472795C
	v_mfma_scale_f32_16x16x128_f8f6f4 a[16:19], v[96:99], v[64:67], a[16:19], v189, v187 op_sel_hi:[0,0,0] cbsz:4 blgp:4// 000000005CC8: D3AC6000 180377BD D3AD8C10 84428160
	buffer_load_dwordx4 v[144:147], v210, s[16:19], 0 offen offset:1024// 000000005CD8: E05C1400 800490D2
	v_mfma_scale_f32_16x16x128_f8f6f4 a[20:23], v[96:99], v[68:71], a[20:23], v189, v187 op_sel_hi:[0,0,0] cbsz:4 blgp:4// 000000005CE0: D3AC7000 180377BD D3AD8C14 84528960
	v_mfma_scale_f32_16x16x128_f8f6f4 a[24:27], v[100:103], v[64:67], a[24:27], v189, v187 op_sel_hi:[0,0,0] cbsz:4 blgp:4// 000000005CF0: D3AC6800 180377BD D3AD8C18 84628164
	buffer_load_dwordx4 v[148:151], v211, s[16:19], 0 offen offset:1024// 000000005D00: E05C1400 800494D3
	v_mfma_scale_f32_16x16x128_f8f6f4 a[28:31], v[100:103], v[68:71], a[28:31], v189, v187 op_sel_hi:[0,0,0] cbsz:4 blgp:4// 000000005D08: D3AC7800 180377BD D3AD8C1C 84728964
	buffer_load_dword v192, v220, s[24:27], 0 offen            // 000000005D18: E0501000 8006C0DC
	s_waitcnt vmcnt(10)                                        // 000000005D20: BF8C0F7A
	v_mfma_scale_f32_16x16x128_f8f6f4 a[32:35], v[104:107], v[56:59], a[32:35], v190, v187 op_sel_hi:[0,0,0] cbsz:4 blgp:4// 000000005D24: D3AC6000 000377BE D3AD8C20 84827168
	buffer_load_dwordx4 v[152:155], v212, s[16:19], 0 offen    // 000000005D34: E05C1000 800498D4
	v_mfma_scale_f32_16x16x128_f8f6f4 a[36:39], v[104:107], v[60:63], a[36:39], v190, v187 op_sel_hi:[0,0,0] cbsz:4 blgp:4// 000000005D3C: D3AC7000 000377BE D3AD8C24 84927968
	v_mfma_scale_f32_16x16x128_f8f6f4 a[40:43], v[108:111], v[56:59], a[40:43], v190, v187 op_sel_hi:[0,0,0] cbsz:4 blgp:4// 000000005D4C: D3AC6800 000377BE D3AD8C28 84A2716C
	buffer_load_dwordx4 v[156:159], v213, s[16:19], 0 offen    // 000000005D5C: E05C1000 80049CD5
	v_mfma_scale_f32_16x16x128_f8f6f4 a[44:47], v[108:111], v[60:63], a[44:47], v190, v187 op_sel_hi:[0,0,0] cbsz:4 blgp:4// 000000005D64: D3AC7800 000377BE D3AD8C2C 84B2796C
	v_mfma_scale_f32_16x16x128_f8f6f4 a[32:35], v[112:115], v[64:67], a[32:35], v190, v187 op_sel_hi:[0,0,0] cbsz:4 blgp:4// 000000005D74: D3AC6000 180377BE D3AD8C20 84828170
	buffer_load_dwordx4 v[160:163], v212, s[16:19], 0 offen offset:1024// 000000005D84: E05C1400 8004A0D4
	v_mfma_scale_f32_16x16x128_f8f6f4 a[36:39], v[112:115], v[68:71], a[36:39], v190, v187 op_sel_hi:[0,0,0] cbsz:4 blgp:4// 000000005D8C: D3AC7000 180377BE D3AD8C24 84928970
	v_mfma_scale_f32_16x16x128_f8f6f4 a[40:43], v[116:119], v[64:67], a[40:43], v190, v187 op_sel_hi:[0,0,0] cbsz:4 blgp:4// 000000005D9C: D3AC6800 180377BE D3AD8C28 84A28174
	buffer_load_dwordx4 v[164:167], v213, s[16:19], 0 offen offset:1024// 000000005DAC: E05C1400 8004A4D5
	v_mfma_scale_f32_16x16x128_f8f6f4 a[44:47], v[116:119], v[68:71], a[44:47], v190, v187 op_sel_hi:[0,0,0] cbsz:4 blgp:4// 000000005DB4: D3AC7800 180377BE D3AD8C2C 84B28974
	buffer_load_dword v193, v221, s[24:27], 0 offen            // 000000005DC4: E0501000 8006C1DD
	s_waitcnt vmcnt(10)                                        // 000000005DCC: BF8C0F7A
	v_mfma_scale_f32_16x16x128_f8f6f4 a[48:51], v[120:123], v[56:59], a[48:51], v191, v187 op_sel_hi:[0,0,0] cbsz:4 blgp:4// 000000005DD0: D3AC6000 000377BF D3AD8C30 84C27178
	s_add_u32 s63, 0x100, s60                                  // 000000005DE0: 803F3CFF 00000100
	buffer_load_dwordx4 v[168:171], v214, s[16:19], 0 offen    // 000000005DE8: E05C1000 8004A8D6
	v_mfma_scale_f32_16x16x128_f8f6f4 a[52:55], v[120:123], v[60:63], a[52:55], v191, v187 op_sel_hi:[0,0,0] cbsz:4 blgp:4// 000000005DF0: D3AC7000 000377BF D3AD8C34 84D27978
	s_cmp_lt_u32 s63, s61                                      // 000000005E00: BF0A3D3F
	s_cselect_b32 s67, s67, 0                                  // 000000005E04: 85438043
	v_mfma_scale_f32_16x16x128_f8f6f4 a[56:59], v[124:127], v[56:59], a[56:59], v191, v187 op_sel_hi:[0,0,0] cbsz:4 blgp:4// 000000005E08: D3AC6800 000377BF D3AD8C38 84E2717C
	s_cselect_b32 s69, s69, 0                                  // 000000005E18: 85458045
	buffer_load_dwordx4 v[172:175], v215, s[16:19], 0 offen    // 000000005E1C: E05C1000 8004ACD7
	v_mfma_scale_f32_16x16x128_f8f6f4 a[60:63], v[124:127], v[60:63], a[60:63], v191, v187 op_sel_hi:[0,0,0] cbsz:4 blgp:4// 000000005E24: D3AC7800 000377BF D3AD8C3C 84F2797C
	v_mfma_scale_f32_16x16x128_f8f6f4 a[48:51], v[128:131], v[64:67], a[48:51], v191, v187 op_sel_hi:[0,0,0] cbsz:4 blgp:4// 000000005E34: D3AC6000 180377BF D3AD8C30 84C28180
	buffer_load_dwordx4 v[176:179], v214, s[16:19], 0 offen offset:1024// 000000005E44: E05C1400 8004B0D6
	v_mfma_scale_f32_16x16x128_f8f6f4 a[52:55], v[128:131], v[68:71], a[52:55], v191, v187 op_sel_hi:[0,0,0] cbsz:4 blgp:4// 000000005E4C: D3AC7000 180377BF D3AD8C34 84D28980
	v_mfma_scale_f32_16x16x128_f8f6f4 a[56:59], v[132:135], v[64:67], a[56:59], v191, v187 op_sel_hi:[0,0,0] cbsz:4 blgp:4// 000000005E5C: D3AC6800 180377BF D3AD8C38 84E28184
	buffer_load_dwordx4 v[180:183], v215, s[16:19], 0 offen offset:1024// 000000005E6C: E05C1400 8004B4D7
	v_mfma_scale_f32_16x16x128_f8f6f4 a[60:63], v[132:135], v[68:71], a[60:63], v191, v187 op_sel_hi:[0,0,0] cbsz:4 blgp:4// 000000005E74: D3AC7800 180377BF D3AD8C3C 84F28984
	buffer_load_dword v194, v222, s[24:27], 0 offen            // 000000005E84: E0501000 8006C2DE
	s_add_u32 s16, s16, s67                                    // 000000005E8C: 80104310
	s_addc_u32 s17, 0, s17                                     // 000000005E90: 82111180
	s_sub_u32 s18, s18, s67                                    // 000000005E94: 80924312
	s_add_u32 s24, s24, s69                                    // 000000005E98: 80184518
	s_addc_u32 s25, 0, s25                                     // 000000005E9C: 82191980
	s_sub_u32 s26, s26, s69                                    // 000000005EA0: 809A451A
	s_add_u32 m0, 0x400, s65                                   // 000000005EA4: 807C41FF 00000400
	buffer_load_dword v200, s[20:23], 0 offen lds              // 000000005EAC: E0511000 800500C8
	s_waitcnt vmcnt(11)                                        // 000000005EB4: BF8C0F7B
	v_mfma_scale_f32_16x16x128_f8f6f4 a[64:67], v[136:139], v[56:59], a[64:67], v192, v187 op_sel_hi:[0,0,0] cbsz:4 blgp:4// 000000005EB8: D3AC6000 000377C0 D3AD8C40 85027188
	s_add_u32 m0, 0x1080, s64                                  // 000000005EC8: 807C40FF 00001080
	buffer_load_dwordx4 v195, s[12:15], 0 offen lds            // 000000005ED0: E05D1000 800300C3
	v_mfma_scale_f32_16x16x128_f8f6f4 a[68:71], v[136:139], v[60:63], a[68:71], v192, v187 op_sel_hi:[0,0,0] cbsz:4 blgp:4// 000000005ED8: D3AC7000 000377C0 D3AD8C44 85127988
	s_add_u32 s62, 0x300, s60                                  // 000000005EE8: 803E3CFF 00000300
	s_cmp_lt_u32 s62, s61                                      // 000000005EF0: BF0A3D3E
	v_mfma_scale_f32_16x16x128_f8f6f4 a[72:75], v[140:143], v[56:59], a[72:75], v192, v187 op_sel_hi:[0,0,0] cbsz:4 blgp:4// 000000005EF4: D3AC6800 000377C0 D3AD8C48 8522718C
	s_cselect_b32 s66, s66, 0                                  // 000000005F04: 85428042
	buffer_load_dwordx4 v[72:75], v202, s[16:19], 0 offen      // 000000005F08: E05C1000 800448CA
	v_mfma_scale_f32_16x16x128_f8f6f4 a[76:79], v[140:143], v[60:63], a[76:79], v192, v187 op_sel_hi:[0,0,0] cbsz:4 blgp:4// 000000005F10: D3AC7800 000377C0 D3AD8C4C 8532798C
	s_cselect_b32 s68, s68, 0                                  // 000000005F20: 85448044
	s_add_u32 s12, s12, s66                                    // 000000005F24: 800C420C
	v_mfma_scale_f32_16x16x128_f8f6f4 a[64:67], v[144:147], v[64:67], a[64:67], v192, v187 op_sel_hi:[0,0,0] cbsz:4 blgp:4// 000000005F28: D3AC6000 180377C0 D3AD8C40 85028190
	s_addc_u32 s13, 0, s13                                     // 000000005F38: 820D0D80
	buffer_load_dwordx4 v[76:79], v203, s[16:19], 0 offen      // 000000005F3C: E05C1000 80044CCB
	v_mfma_scale_f32_16x16x128_f8f6f4 a[68:71], v[144:147], v[68:71], a[68:71], v192, v187 op_sel_hi:[0,0,0] cbsz:4 blgp:4// 000000005F44: D3AC7000 180377C0 D3AD8C44 85128990
	s_sub_u32 s14, s14, s66                                    // 000000005F54: 808E420E
	s_add_u32 s20, s20, s68                                    // 000000005F58: 80144414
	v_mfma_scale_f32_16x16x128_f8f6f4 a[72:75], v[148:151], v[64:67], a[72:75], v192, v187 op_sel_hi:[0,0,0] cbsz:4 blgp:4// 000000005F5C: D3AC6800 180377C0 D3AD8C48 85228194
	s_addc_u32 s21, 0, s21                                     // 000000005F6C: 82151580
	buffer_load_dwordx4 v[80:83], v202, s[16:19], 0 offen offset:1024// 000000005F70: E05C1400 800450CA
	v_mfma_scale_f32_16x16x128_f8f6f4 a[76:79], v[148:151], v[68:71], a[76:79], v192, v187 op_sel_hi:[0,0,0] cbsz:4 blgp:4// 000000005F78: D3AC7800 180377C0 D3AD8C4C 85328994
	s_sub_u32 s22, s22, s68                                    // 000000005F88: 80964416
	buffer_load_dwordx4 v[84:87], v203, s[16:19], 0 offen offset:1024// 000000005F8C: E05C1400 800454CB
	buffer_load_dword v188, v216, s[24:27], 0 offen            // 000000005F94: E0501000 8006BCD8
	s_waitcnt vmcnt(12)                                        // 000000005F9C: BF8C0F7C
	v_mfma_scale_f32_16x16x128_f8f6f4 a[80:83], v[152:155], v[56:59], a[80:83], v193, v187 op_sel_hi:[0,0,0] cbsz:4 blgp:4// 000000005FA0: D3AC6000 000377C1 D3AD8C50 85427198
	buffer_load_dwordx4 v[88:91], v204, s[16:19], 0 offen      // 000000005FB0: E05C1000 800458CC
	v_mfma_scale_f32_16x16x128_f8f6f4 a[84:87], v[152:155], v[60:63], a[84:87], v193, v187 op_sel_hi:[0,0,0] cbsz:4 blgp:4// 000000005FB8: D3AC7000 000377C1 D3AD8C54 85527998
	v_mfma_scale_f32_16x16x128_f8f6f4 a[88:91], v[156:159], v[56:59], a[88:91], v193, v187 op_sel_hi:[0,0,0] cbsz:4 blgp:4// 000000005FC8: D3AC6800 000377C1 D3AD8C58 8562719C
	buffer_load_dwordx4 v[92:95], v205, s[16:19], 0 offen      // 000000005FD8: E05C1000 80045CCD
	v_mfma_scale_f32_16x16x128_f8f6f4 a[92:95], v[156:159], v[60:63], a[92:95], v193, v187 op_sel_hi:[0,0,0] cbsz:4 blgp:4// 000000005FE0: D3AC7800 000377C1 D3AD8C5C 8572799C
	v_mfma_scale_f32_16x16x128_f8f6f4 a[80:83], v[160:163], v[64:67], a[80:83], v193, v187 op_sel_hi:[0,0,0] cbsz:4 blgp:4// 000000005FF0: D3AC6000 180377C1 D3AD8C50 854281A0
	buffer_load_dwordx4 v[96:99], v204, s[16:19], 0 offen offset:1024// 000000006000: E05C1400 800460CC
	v_mfma_scale_f32_16x16x128_f8f6f4 a[84:87], v[160:163], v[68:71], a[84:87], v193, v187 op_sel_hi:[0,0,0] cbsz:4 blgp:4// 000000006008: D3AC7000 180377C1 D3AD8C54 855289A0
	v_mfma_scale_f32_16x16x128_f8f6f4 a[88:91], v[164:167], v[64:67], a[88:91], v193, v187 op_sel_hi:[0,0,0] cbsz:4 blgp:4// 000000006018: D3AC6800 180377C1 D3AD8C58 856281A4
	buffer_load_dwordx4 v[100:103], v205, s[16:19], 0 offen offset:1024// 000000006028: E05C1400 800464CD
	v_mfma_scale_f32_16x16x128_f8f6f4 a[92:95], v[164:167], v[68:71], a[92:95], v193, v187 op_sel_hi:[0,0,0] cbsz:4 blgp:4// 000000006030: D3AC7800 180377C1 D3AD8C5C 857289A4
	buffer_load_dword v189, v217, s[24:27], 0 offen            // 000000006040: E0501000 8006BDD9
	s_waitcnt vmcnt(10)                                        // 000000006048: BF8C0F7A
	s_barrier                                                  // 00000000604C: BF8A0000
	v_mfma_scale_f32_16x16x128_f8f6f4 a[96:99], v[168:171], v[56:59], a[96:99], v194, v187 op_sel_hi:[0,0,0] cbsz:4 blgp:4// 000000006050: D3AC6000 000377C2 D3AD8C60 858271A8
	s_addk_i32 s60, 0x100                                      // 000000006060: B73C0100
	buffer_load_dwordx4 v[104:107], v206, s[16:19], 0 offen    // 000000006064: E05C1000 800468CE
	v_mfma_scale_f32_16x16x128_f8f6f4 a[100:103], v[168:171], v[60:63], a[100:103], v194, v187 op_sel_hi:[0,0,0] cbsz:4 blgp:4// 00000000606C: D3AC7000 000377C2 D3AD8C64 859279A8
	s_cmp_lt_i32 s60, s61                                      // 00000000607C: BF043D3C
	ds_read_b128 v[24:27], v197                                // 000000006080: D9FE0000 180000C5
	v_mfma_scale_f32_16x16x128_f8f6f4 a[104:107], v[172:175], v[56:59], a[104:107], v194, v187 op_sel_hi:[0,0,0] cbsz:4 blgp:4// 000000006088: D3AC6800 000377C2 D3AD8C68 85A271AC
	buffer_load_dwordx4 v[108:111], v207, s[16:19], 0 offen    // 000000006098: E05C1000 80046CCF
	v_mfma_scale_f32_16x16x128_f8f6f4 a[108:111], v[172:175], v[60:63], a[108:111], v194, v187 op_sel_hi:[0,0,0] cbsz:4 blgp:4// 0000000060A0: D3AC7800 000377C2 D3AD8C6C 85B279AC
	ds_read_b128 v[32:35], v197 offset:64                      // 0000000060B0: D9FE0040 200000C5
	v_mfma_scale_f32_16x16x128_f8f6f4 a[96:99], v[176:179], v[64:67], a[96:99], v194, v187 op_sel_hi:[0,0,0] cbsz:4 blgp:4// 0000000060B8: D3AC6000 180377C2 D3AD8C60 858281B0
	buffer_load_dwordx4 v[112:115], v206, s[16:19], 0 offen offset:1024// 0000000060C8: E05C1400 800470CE
	v_mfma_scale_f32_16x16x128_f8f6f4 a[100:103], v[176:179], v[68:71], a[100:103], v194, v187 op_sel_hi:[0,0,0] cbsz:4 blgp:4// 0000000060D0: D3AC7000 180377C2 D3AD8C64 859289B0
	ds_read_b128 v[28:31], v197 offset:512                     // 0000000060E0: D9FE0200 1C0000C5
	v_mfma_scale_f32_16x16x128_f8f6f4 a[104:107], v[180:183], v[64:67], a[104:107], v194, v187 op_sel_hi:[0,0,0] cbsz:4 blgp:4// 0000000060E8: D3AC6800 180377C2 D3AD8C68 85A281B4
	buffer_load_dwordx4 v[116:119], v207, s[16:19], 0 offen offset:1024// 0000000060F8: E05C1400 800474CF
	v_mfma_scale_f32_16x16x128_f8f6f4 a[108:111], v[180:183], v[68:71], a[108:111], v194, v187 op_sel_hi:[0,0,0] cbsz:4 blgp:4// 000000006100: D3AC7800 180377C2 D3AD8C6C 85B289B4
	ds_read_b128 v[36:39], v197 offset:576                     // 000000006110: D9FE0240 240000C5
	ds_read_b32 v185, v201 offset:1024                         // 000000006118: D86C0400 B90000C9
	buffer_load_dword v190, v218, s[24:27], 0 offen            // 000000006120: E0501000 8006BEDA
	s_cbranch_scc0 label_0D4C                                  // 000000006128: BF840001
	s_branch label_07E9                                        // 00000000612C: BF82FA9D

0000000000006130 <label_0D4C>:
	s_waitcnt lgkmcnt(0)                                       // 000000006130: BF8CC07F
	s_mul_i32 s62, s47, 0x380                                  // 000000006134: 923EFF2F 00000380
	s_mul_i32 s63, s46, 0xe0                                   // 00000000613C: 923FFF2E 000000E0
	s_add_u32 s60, s62, s63                                    // 000000006144: 803C3F3E
	s_add_u32 s62, s60, 0xe0                                   // 000000006148: 803EFF3C 000000E0
	s_cmp_lt_i32 s44, s62                                      // 000000006150: BF043E2C
	s_cbranch_scc1 label_0F24                                  // 000000006154: BF8501CE
	s_mul_i32 s62, s36, 16                                     // 000000006158: 923E9024
	v_add_u32_e32 v227, 0, v223                                // 00000000615C: 69C7BE80
	v_accvgpr_read_b32 v8, a0                                  // 000000006160: D3D84008 18000100
	v_accvgpr_read_b32 v9, a1                                  // 000000006168: D3D84009 18000101
	v_accvgpr_read_b32 v10, a2                                 // 000000006170: D3D8400A 18000102
	v_accvgpr_read_b32 v11, a3                                 // 000000006178: D3D8400B 18000103
	v_accvgpr_read_b32 v12, a8                                 // 000000006180: D3D8400C 18000108
	v_accvgpr_read_b32 v13, a9                                 // 000000006188: D3D8400D 18000109
	v_accvgpr_read_b32 v14, a10                                // 000000006190: D3D8400E 1800010A
	v_accvgpr_read_b32 v15, a11                                // 000000006198: D3D8400F 1800010B
	v_cvt_pk_bf16_f32 v16, v8, v9                              // 0000000061A0: D2680010 00021308
	v_cvt_pk_bf16_f32 v17, v10, v11                            // 0000000061A8: D2680011 0002170A
	v_cvt_pk_bf16_f32 v18, v12, v13                            // 0000000061B0: D2680012 00021B0C
	v_cvt_pk_bf16_f32 v19, v14, v15                            // 0000000061B8: D2680013 00021F0E
	s_nop 1                                                    // 0000000061C0: BF800001
	v_permlane16_swap_b32_e32 v16, v18                         // 0000000061C4: 7E20B312
	s_nop 1                                                    // 0000000061C8: BF800001
	v_permlane16_swap_b32_e32 v17, v19                         // 0000000061CC: 7E22B313
	s_nop 1                                                    // 0000000061D0: BF800001
	buffer_store_dwordx4 v[16:19], v227, s[4:7], 0 offen       // 0000000061D4: E07C1000 800110E3
	v_add_u32_e32 v227, s62, v227                              // 0000000061DC: 69C7C63E
	v_accvgpr_read_b32 v8, a4                                  // 0000000061E0: D3D84008 18000104
	v_accvgpr_read_b32 v9, a5                                  // 0000000061E8: D3D84009 18000105
	v_accvgpr_read_b32 v10, a6                                 // 0000000061F0: D3D8400A 18000106
	v_accvgpr_read_b32 v11, a7                                 // 0000000061F8: D3D8400B 18000107
	v_accvgpr_read_b32 v12, a12                                // 000000006200: D3D8400C 1800010C
	v_accvgpr_read_b32 v13, a13                                // 000000006208: D3D8400D 1800010D
	v_accvgpr_read_b32 v14, a14                                // 000000006210: D3D8400E 1800010E
	v_accvgpr_read_b32 v15, a15                                // 000000006218: D3D8400F 1800010F
	v_cvt_pk_bf16_f32 v16, v8, v9                              // 000000006220: D2680010 00021308
	v_cvt_pk_bf16_f32 v17, v10, v11                            // 000000006228: D2680011 0002170A
	v_cvt_pk_bf16_f32 v18, v12, v13                            // 000000006230: D2680012 00021B0C
	v_cvt_pk_bf16_f32 v19, v14, v15                            // 000000006238: D2680013 00021F0E
	s_nop 1                                                    // 000000006240: BF800001
	v_permlane16_swap_b32_e32 v16, v18                         // 000000006244: 7E20B312
	s_nop 1                                                    // 000000006248: BF800001
	v_permlane16_swap_b32_e32 v17, v19                         // 00000000624C: 7E22B313
	s_nop 1                                                    // 000000006250: BF800001
	buffer_store_dwordx4 v[16:19], v227, s[4:7], 0 offen       // 000000006254: E07C1000 800110E3
	v_add_u32_e32 v227, s62, v227                              // 00000000625C: 69C7C63E
	v_add_u32_e32 v227, 64, v223                               // 000000006260: 69C7BEC0
	v_accvgpr_read_b32 v8, a16                                 // 000000006264: D3D84008 18000110
	v_accvgpr_read_b32 v9, a17                                 // 00000000626C: D3D84009 18000111
	v_accvgpr_read_b32 v10, a18                                // 000000006274: D3D8400A 18000112
	v_accvgpr_read_b32 v11, a19                                // 00000000627C: D3D8400B 18000113
	v_accvgpr_read_b32 v12, a24                                // 000000006284: D3D8400C 18000118
	v_accvgpr_read_b32 v13, a25                                // 00000000628C: D3D8400D 18000119
	v_accvgpr_read_b32 v14, a26                                // 000000006294: D3D8400E 1800011A
	v_accvgpr_read_b32 v15, a27                                // 00000000629C: D3D8400F 1800011B
	v_cvt_pk_bf16_f32 v16, v8, v9                              // 0000000062A4: D2680010 00021308
	v_cvt_pk_bf16_f32 v17, v10, v11                            // 0000000062AC: D2680011 0002170A
	v_cvt_pk_bf16_f32 v18, v12, v13                            // 0000000062B4: D2680012 00021B0C
	v_cvt_pk_bf16_f32 v19, v14, v15                            // 0000000062BC: D2680013 00021F0E
	s_nop 1                                                    // 0000000062C4: BF800001
	v_permlane16_swap_b32_e32 v16, v18                         // 0000000062C8: 7E20B312
	s_nop 1                                                    // 0000000062CC: BF800001
	v_permlane16_swap_b32_e32 v17, v19                         // 0000000062D0: 7E22B313
	s_nop 1                                                    // 0000000062D4: BF800001
	buffer_store_dwordx4 v[16:19], v227, s[4:7], 0 offen       // 0000000062D8: E07C1000 800110E3
	v_add_u32_e32 v227, s62, v227                              // 0000000062E0: 69C7C63E
	v_accvgpr_read_b32 v8, a20                                 // 0000000062E4: D3D84008 18000114
	v_accvgpr_read_b32 v9, a21                                 // 0000000062EC: D3D84009 18000115
	v_accvgpr_read_b32 v10, a22                                // 0000000062F4: D3D8400A 18000116
	v_accvgpr_read_b32 v11, a23                                // 0000000062FC: D3D8400B 18000117
	v_accvgpr_read_b32 v12, a28                                // 000000006304: D3D8400C 1800011C
	v_accvgpr_read_b32 v13, a29                                // 00000000630C: D3D8400D 1800011D
	v_accvgpr_read_b32 v14, a30                                // 000000006314: D3D8400E 1800011E
	v_accvgpr_read_b32 v15, a31                                // 00000000631C: D3D8400F 1800011F
	v_cvt_pk_bf16_f32 v16, v8, v9                              // 000000006324: D2680010 00021308
	v_cvt_pk_bf16_f32 v17, v10, v11                            // 00000000632C: D2680011 0002170A
	v_cvt_pk_bf16_f32 v18, v12, v13                            // 000000006334: D2680012 00021B0C
	v_cvt_pk_bf16_f32 v19, v14, v15                            // 00000000633C: D2680013 00021F0E
	s_nop 1                                                    // 000000006344: BF800001
	v_permlane16_swap_b32_e32 v16, v18                         // 000000006348: 7E20B312
	s_nop 1                                                    // 00000000634C: BF800001
	v_permlane16_swap_b32_e32 v17, v19                         // 000000006350: 7E22B313
	s_nop 1                                                    // 000000006354: BF800001
	buffer_store_dwordx4 v[16:19], v227, s[4:7], 0 offen       // 000000006358: E07C1000 800110E3
	v_add_u32_e32 v227, s62, v227                              // 000000006360: 69C7C63E
	v_add_u32_e32 v227, 0x80, v223                             // 000000006364: 69C7BEFF 00000080
	v_accvgpr_read_b32 v8, a32                                 // 00000000636C: D3D84008 18000120
	v_accvgpr_read_b32 v9, a33                                 // 000000006374: D3D84009 18000121
	v_accvgpr_read_b32 v10, a34                                // 00000000637C: D3D8400A 18000122
	v_accvgpr_read_b32 v11, a35                                // 000000006384: D3D8400B 18000123
	v_accvgpr_read_b32 v12, a40                                // 00000000638C: D3D8400C 18000128
	v_accvgpr_read_b32 v13, a41                                // 000000006394: D3D8400D 18000129
	v_accvgpr_read_b32 v14, a42                                // 00000000639C: D3D8400E 1800012A
	v_accvgpr_read_b32 v15, a43                                // 0000000063A4: D3D8400F 1800012B
	v_cvt_pk_bf16_f32 v16, v8, v9                              // 0000000063AC: D2680010 00021308
	v_cvt_pk_bf16_f32 v17, v10, v11                            // 0000000063B4: D2680011 0002170A
	v_cvt_pk_bf16_f32 v18, v12, v13                            // 0000000063BC: D2680012 00021B0C
	v_cvt_pk_bf16_f32 v19, v14, v15                            // 0000000063C4: D2680013 00021F0E
	s_nop 1                                                    // 0000000063CC: BF800001
	v_permlane16_swap_b32_e32 v16, v18                         // 0000000063D0: 7E20B312
	s_nop 1                                                    // 0000000063D4: BF800001
	v_permlane16_swap_b32_e32 v17, v19                         // 0000000063D8: 7E22B313
	s_nop 1                                                    // 0000000063DC: BF800001
	buffer_store_dwordx4 v[16:19], v227, s[4:7], 0 offen       // 0000000063E0: E07C1000 800110E3
	v_add_u32_e32 v227, s62, v227                              // 0000000063E8: 69C7C63E
	v_accvgpr_read_b32 v8, a36                                 // 0000000063EC: D3D84008 18000124
	v_accvgpr_read_b32 v9, a37                                 // 0000000063F4: D3D84009 18000125
	v_accvgpr_read_b32 v10, a38                                // 0000000063FC: D3D8400A 18000126
	v_accvgpr_read_b32 v11, a39                                // 000000006404: D3D8400B 18000127
	v_accvgpr_read_b32 v12, a44                                // 00000000640C: D3D8400C 1800012C
	v_accvgpr_read_b32 v13, a45                                // 000000006414: D3D8400D 1800012D
	v_accvgpr_read_b32 v14, a46                                // 00000000641C: D3D8400E 1800012E
	v_accvgpr_read_b32 v15, a47                                // 000000006424: D3D8400F 1800012F
	v_cvt_pk_bf16_f32 v16, v8, v9                              // 00000000642C: D2680010 00021308
	v_cvt_pk_bf16_f32 v17, v10, v11                            // 000000006434: D2680011 0002170A
	v_cvt_pk_bf16_f32 v18, v12, v13                            // 00000000643C: D2680012 00021B0C
	v_cvt_pk_bf16_f32 v19, v14, v15                            // 000000006444: D2680013 00021F0E
	s_nop 1                                                    // 00000000644C: BF800001
	v_permlane16_swap_b32_e32 v16, v18                         // 000000006450: 7E20B312
	s_nop 1                                                    // 000000006454: BF800001
	v_permlane16_swap_b32_e32 v17, v19                         // 000000006458: 7E22B313
	s_nop 1                                                    // 00000000645C: BF800001
	buffer_store_dwordx4 v[16:19], v227, s[4:7], 0 offen       // 000000006460: E07C1000 800110E3
	v_add_u32_e32 v227, s62, v227                              // 000000006468: 69C7C63E
	v_add_u32_e32 v227, 0xc0, v223                             // 00000000646C: 69C7BEFF 000000C0
	v_accvgpr_read_b32 v8, a48                                 // 000000006474: D3D84008 18000130
	v_accvgpr_read_b32 v9, a49                                 // 00000000647C: D3D84009 18000131
	v_accvgpr_read_b32 v10, a50                                // 000000006484: D3D8400A 18000132
	v_accvgpr_read_b32 v11, a51                                // 00000000648C: D3D8400B 18000133
	v_accvgpr_read_b32 v12, a56                                // 000000006494: D3D8400C 18000138
	v_accvgpr_read_b32 v13, a57                                // 00000000649C: D3D8400D 18000139
	v_accvgpr_read_b32 v14, a58                                // 0000000064A4: D3D8400E 1800013A
	v_accvgpr_read_b32 v15, a59                                // 0000000064AC: D3D8400F 1800013B
	v_cvt_pk_bf16_f32 v16, v8, v9                              // 0000000064B4: D2680010 00021308
	v_cvt_pk_bf16_f32 v17, v10, v11                            // 0000000064BC: D2680011 0002170A
	v_cvt_pk_bf16_f32 v18, v12, v13                            // 0000000064C4: D2680012 00021B0C
	v_cvt_pk_bf16_f32 v19, v14, v15                            // 0000000064CC: D2680013 00021F0E
	s_nop 1                                                    // 0000000064D4: BF800001
	v_permlane16_swap_b32_e32 v16, v18                         // 0000000064D8: 7E20B312
	s_nop 1                                                    // 0000000064DC: BF800001
	v_permlane16_swap_b32_e32 v17, v19                         // 0000000064E0: 7E22B313
	s_nop 1                                                    // 0000000064E4: BF800001
	buffer_store_dwordx4 v[16:19], v227, s[4:7], 0 offen       // 0000000064E8: E07C1000 800110E3
	v_add_u32_e32 v227, s62, v227                              // 0000000064F0: 69C7C63E
	v_accvgpr_read_b32 v8, a52                                 // 0000000064F4: D3D84008 18000134
	v_accvgpr_read_b32 v9, a53                                 // 0000000064FC: D3D84009 18000135
	v_accvgpr_read_b32 v10, a54                                // 000000006504: D3D8400A 18000136
	v_accvgpr_read_b32 v11, a55                                // 00000000650C: D3D8400B 18000137
	v_accvgpr_read_b32 v12, a60                                // 000000006514: D3D8400C 1800013C
	v_accvgpr_read_b32 v13, a61                                // 00000000651C: D3D8400D 1800013D
	v_accvgpr_read_b32 v14, a62                                // 000000006524: D3D8400E 1800013E
	v_accvgpr_read_b32 v15, a63                                // 00000000652C: D3D8400F 1800013F
	v_cvt_pk_bf16_f32 v16, v8, v9                              // 000000006534: D2680010 00021308
	v_cvt_pk_bf16_f32 v17, v10, v11                            // 00000000653C: D2680011 0002170A
	v_cvt_pk_bf16_f32 v18, v12, v13                            // 000000006544: D2680012 00021B0C
	v_cvt_pk_bf16_f32 v19, v14, v15                            // 00000000654C: D2680013 00021F0E
	s_nop 1                                                    // 000000006554: BF800001
	v_permlane16_swap_b32_e32 v16, v18                         // 000000006558: 7E20B312
	s_nop 1                                                    // 00000000655C: BF800001
	v_permlane16_swap_b32_e32 v17, v19                         // 000000006560: 7E22B313
	s_nop 1                                                    // 000000006564: BF800001
	buffer_store_dwordx4 v[16:19], v227, s[4:7], 0 offen       // 000000006568: E07C1000 800110E3
	v_add_u32_e32 v227, s62, v227                              // 000000006570: 69C7C63E
	v_add_u32_e32 v227, 0x100, v223                            // 000000006574: 69C7BEFF 00000100
	v_accvgpr_read_b32 v8, a64                                 // 00000000657C: D3D84008 18000140
	v_accvgpr_read_b32 v9, a65                                 // 000000006584: D3D84009 18000141
	v_accvgpr_read_b32 v10, a66                                // 00000000658C: D3D8400A 18000142
	v_accvgpr_read_b32 v11, a67                                // 000000006594: D3D8400B 18000143
	v_accvgpr_read_b32 v12, a72                                // 00000000659C: D3D8400C 18000148
	v_accvgpr_read_b32 v13, a73                                // 0000000065A4: D3D8400D 18000149
	v_accvgpr_read_b32 v14, a74                                // 0000000065AC: D3D8400E 1800014A
	v_accvgpr_read_b32 v15, a75                                // 0000000065B4: D3D8400F 1800014B
	v_cvt_pk_bf16_f32 v16, v8, v9                              // 0000000065BC: D2680010 00021308
	v_cvt_pk_bf16_f32 v17, v10, v11                            // 0000000065C4: D2680011 0002170A
	v_cvt_pk_bf16_f32 v18, v12, v13                            // 0000000065CC: D2680012 00021B0C
	v_cvt_pk_bf16_f32 v19, v14, v15                            // 0000000065D4: D2680013 00021F0E
	s_nop 1                                                    // 0000000065DC: BF800001
	v_permlane16_swap_b32_e32 v16, v18                         // 0000000065E0: 7E20B312
	s_nop 1                                                    // 0000000065E4: BF800001
	v_permlane16_swap_b32_e32 v17, v19                         // 0000000065E8: 7E22B313
	s_nop 1                                                    // 0000000065EC: BF800001
	buffer_store_dwordx4 v[16:19], v227, s[4:7], 0 offen       // 0000000065F0: E07C1000 800110E3
	v_add_u32_e32 v227, s62, v227                              // 0000000065F8: 69C7C63E
	v_accvgpr_read_b32 v8, a68                                 // 0000000065FC: D3D84008 18000144
	v_accvgpr_read_b32 v9, a69                                 // 000000006604: D3D84009 18000145
	v_accvgpr_read_b32 v10, a70                                // 00000000660C: D3D8400A 18000146
	v_accvgpr_read_b32 v11, a71                                // 000000006614: D3D8400B 18000147
	v_accvgpr_read_b32 v12, a76                                // 00000000661C: D3D8400C 1800014C
	v_accvgpr_read_b32 v13, a77                                // 000000006624: D3D8400D 1800014D
	v_accvgpr_read_b32 v14, a78                                // 00000000662C: D3D8400E 1800014E
	v_accvgpr_read_b32 v15, a79                                // 000000006634: D3D8400F 1800014F
	v_cvt_pk_bf16_f32 v16, v8, v9                              // 00000000663C: D2680010 00021308
	v_cvt_pk_bf16_f32 v17, v10, v11                            // 000000006644: D2680011 0002170A
	v_cvt_pk_bf16_f32 v18, v12, v13                            // 00000000664C: D2680012 00021B0C
	v_cvt_pk_bf16_f32 v19, v14, v15                            // 000000006654: D2680013 00021F0E
	s_nop 1                                                    // 00000000665C: BF800001
	v_permlane16_swap_b32_e32 v16, v18                         // 000000006660: 7E20B312
	s_nop 1                                                    // 000000006664: BF800001
	v_permlane16_swap_b32_e32 v17, v19                         // 000000006668: 7E22B313
	s_nop 1                                                    // 00000000666C: BF800001
	buffer_store_dwordx4 v[16:19], v227, s[4:7], 0 offen       // 000000006670: E07C1000 800110E3
	v_add_u32_e32 v227, s62, v227                              // 000000006678: 69C7C63E
	v_add_u32_e32 v227, 0x140, v223                            // 00000000667C: 69C7BEFF 00000140
	v_accvgpr_read_b32 v8, a80                                 // 000000006684: D3D84008 18000150
	v_accvgpr_read_b32 v9, a81                                 // 00000000668C: D3D84009 18000151
	v_accvgpr_read_b32 v10, a82                                // 000000006694: D3D8400A 18000152
	v_accvgpr_read_b32 v11, a83                                // 00000000669C: D3D8400B 18000153
	v_accvgpr_read_b32 v12, a88                                // 0000000066A4: D3D8400C 18000158
	v_accvgpr_read_b32 v13, a89                                // 0000000066AC: D3D8400D 18000159
	v_accvgpr_read_b32 v14, a90                                // 0000000066B4: D3D8400E 1800015A
	v_accvgpr_read_b32 v15, a91                                // 0000000066BC: D3D8400F 1800015B
	v_cvt_pk_bf16_f32 v16, v8, v9                              // 0000000066C4: D2680010 00021308
	v_cvt_pk_bf16_f32 v17, v10, v11                            // 0000000066CC: D2680011 0002170A
	v_cvt_pk_bf16_f32 v18, v12, v13                            // 0000000066D4: D2680012 00021B0C
	v_cvt_pk_bf16_f32 v19, v14, v15                            // 0000000066DC: D2680013 00021F0E
	s_nop 1                                                    // 0000000066E4: BF800001
	v_permlane16_swap_b32_e32 v16, v18                         // 0000000066E8: 7E20B312
	s_nop 1                                                    // 0000000066EC: BF800001
	v_permlane16_swap_b32_e32 v17, v19                         // 0000000066F0: 7E22B313
	s_nop 1                                                    // 0000000066F4: BF800001
	buffer_store_dwordx4 v[16:19], v227, s[4:7], 0 offen       // 0000000066F8: E07C1000 800110E3
	v_add_u32_e32 v227, s62, v227                              // 000000006700: 69C7C63E
	v_accvgpr_read_b32 v8, a84                                 // 000000006704: D3D84008 18000154
	v_accvgpr_read_b32 v9, a85                                 // 00000000670C: D3D84009 18000155
	v_accvgpr_read_b32 v10, a86                                // 000000006714: D3D8400A 18000156
	v_accvgpr_read_b32 v11, a87                                // 00000000671C: D3D8400B 18000157
	v_accvgpr_read_b32 v12, a92                                // 000000006724: D3D8400C 1800015C
	v_accvgpr_read_b32 v13, a93                                // 00000000672C: D3D8400D 1800015D
	v_accvgpr_read_b32 v14, a94                                // 000000006734: D3D8400E 1800015E
	v_accvgpr_read_b32 v15, a95                                // 00000000673C: D3D8400F 1800015F
	v_cvt_pk_bf16_f32 v16, v8, v9                              // 000000006744: D2680010 00021308
	v_cvt_pk_bf16_f32 v17, v10, v11                            // 00000000674C: D2680011 0002170A
	v_cvt_pk_bf16_f32 v18, v12, v13                            // 000000006754: D2680012 00021B0C
	v_cvt_pk_bf16_f32 v19, v14, v15                            // 00000000675C: D2680013 00021F0E
	s_nop 1                                                    // 000000006764: BF800001
	v_permlane16_swap_b32_e32 v16, v18                         // 000000006768: 7E20B312
	s_nop 1                                                    // 00000000676C: BF800001
	v_permlane16_swap_b32_e32 v17, v19                         // 000000006770: 7E22B313
	s_nop 1                                                    // 000000006774: BF800001
	buffer_store_dwordx4 v[16:19], v227, s[4:7], 0 offen       // 000000006778: E07C1000 800110E3
	v_add_u32_e32 v227, s62, v227                              // 000000006780: 69C7C63E
	v_add_u32_e32 v227, 0x180, v223                            // 000000006784: 69C7BEFF 00000180
	v_accvgpr_read_b32 v8, a96                                 // 00000000678C: D3D84008 18000160
	v_accvgpr_read_b32 v9, a97                                 // 000000006794: D3D84009 18000161
	v_accvgpr_read_b32 v10, a98                                // 00000000679C: D3D8400A 18000162
	v_accvgpr_read_b32 v11, a99                                // 0000000067A4: D3D8400B 18000163
	v_accvgpr_read_b32 v12, a104                               // 0000000067AC: D3D8400C 18000168
	v_accvgpr_read_b32 v13, a105                               // 0000000067B4: D3D8400D 18000169
	v_accvgpr_read_b32 v14, a106                               // 0000000067BC: D3D8400E 1800016A
	v_accvgpr_read_b32 v15, a107                               // 0000000067C4: D3D8400F 1800016B
	v_cvt_pk_bf16_f32 v16, v8, v9                              // 0000000067CC: D2680010 00021308
	v_cvt_pk_bf16_f32 v17, v10, v11                            // 0000000067D4: D2680011 0002170A
	v_cvt_pk_bf16_f32 v18, v12, v13                            // 0000000067DC: D2680012 00021B0C
	v_cvt_pk_bf16_f32 v19, v14, v15                            // 0000000067E4: D2680013 00021F0E
	s_nop 1                                                    // 0000000067EC: BF800001
	v_permlane16_swap_b32_e32 v16, v18                         // 0000000067F0: 7E20B312
	s_nop 1                                                    // 0000000067F4: BF800001
	v_permlane16_swap_b32_e32 v17, v19                         // 0000000067F8: 7E22B313
	s_nop 1                                                    // 0000000067FC: BF800001
	buffer_store_dwordx4 v[16:19], v227, s[4:7], 0 offen       // 000000006800: E07C1000 800110E3
	v_add_u32_e32 v227, s62, v227                              // 000000006808: 69C7C63E
	v_accvgpr_read_b32 v8, a100                                // 00000000680C: D3D84008 18000164
	v_accvgpr_read_b32 v9, a101                                // 000000006814: D3D84009 18000165
	v_accvgpr_read_b32 v10, a102                               // 00000000681C: D3D8400A 18000166
	v_accvgpr_read_b32 v11, a103                               // 000000006824: D3D8400B 18000167
	v_accvgpr_read_b32 v12, a108                               // 00000000682C: D3D8400C 1800016C
	v_accvgpr_read_b32 v13, a109                               // 000000006834: D3D8400D 1800016D
	v_accvgpr_read_b32 v14, a110                               // 00000000683C: D3D8400E 1800016E
	v_accvgpr_read_b32 v15, a111                               // 000000006844: D3D8400F 1800016F
	v_cvt_pk_bf16_f32 v16, v8, v9                              // 00000000684C: D2680010 00021308
	v_cvt_pk_bf16_f32 v17, v10, v11                            // 000000006854: D2680011 0002170A
	v_cvt_pk_bf16_f32 v18, v12, v13                            // 00000000685C: D2680012 00021B0C
	v_cvt_pk_bf16_f32 v19, v14, v15                            // 000000006864: D2680013 00021F0E
	s_nop 1                                                    // 00000000686C: BF800001
	v_permlane16_swap_b32_e32 v16, v18                         // 000000006870: 7E20B312
	s_nop 1                                                    // 000000006874: BF800001
	v_permlane16_swap_b32_e32 v17, v19                         // 000000006878: 7E22B313
	s_nop 1                                                    // 00000000687C: BF800001
	buffer_store_dwordx4 v[16:19], v227, s[4:7], 0 offen       // 000000006880: E07C1000 800110E3
	v_add_u32_e32 v227, s62, v227                              // 000000006888: 69C7C63E
	s_branch label_1106                                        // 00000000688C: BF8201E2

0000000000006890 <label_0F24>:
	s_mul_i32 s62, s36, 16                                     // 000000006890: 923E9024
	s_cmp_lt_i32 s60, s44                                      // 000000006894: BF042C3C
	s_cbranch_scc0 label_1106                                  // 000000006898: BF8401DF
	s_addk_i32 s60, 0x20                                       // 00000000689C: B73C0020
	v_add_u32_e32 v227, 0, v223                                // 0000000068A0: 69C7BE80
	v_accvgpr_read_b32 v8, a0                                  // 0000000068A4: D3D84008 18000100
	v_accvgpr_read_b32 v9, a1                                  // 0000000068AC: D3D84009 18000101
	v_accvgpr_read_b32 v10, a2                                 // 0000000068B4: D3D8400A 18000102
	v_accvgpr_read_b32 v11, a3                                 // 0000000068BC: D3D8400B 18000103
	v_accvgpr_read_b32 v12, a8                                 // 0000000068C4: D3D8400C 18000108
	v_accvgpr_read_b32 v13, a9                                 // 0000000068CC: D3D8400D 18000109
	v_accvgpr_read_b32 v14, a10                                // 0000000068D4: D3D8400E 1800010A
	v_accvgpr_read_b32 v15, a11                                // 0000000068DC: D3D8400F 1800010B
	v_cvt_pk_bf16_f32 v16, v8, v9                              // 0000000068E4: D2680010 00021308
	v_cvt_pk_bf16_f32 v17, v10, v11                            // 0000000068EC: D2680011 0002170A
	v_cvt_pk_bf16_f32 v18, v12, v13                            // 0000000068F4: D2680012 00021B0C
	v_cvt_pk_bf16_f32 v19, v14, v15                            // 0000000068FC: D2680013 00021F0E
	s_nop 1                                                    // 000000006904: BF800001
	v_permlane16_swap_b32_e32 v16, v18                         // 000000006908: 7E20B312
	s_nop 1                                                    // 00000000690C: BF800001
	v_permlane16_swap_b32_e32 v17, v19                         // 000000006910: 7E22B313
	s_nop 1                                                    // 000000006914: BF800001
	buffer_store_dwordx4 v[16:19], v227, s[4:7], 0 offen       // 000000006918: E07C1000 800110E3
	v_add_u32_e32 v227, s62, v227                              // 000000006920: 69C7C63E
	v_accvgpr_read_b32 v8, a4                                  // 000000006924: D3D84008 18000104
	v_accvgpr_read_b32 v9, a5                                  // 00000000692C: D3D84009 18000105
	v_accvgpr_read_b32 v10, a6                                 // 000000006934: D3D8400A 18000106
	v_accvgpr_read_b32 v11, a7                                 // 00000000693C: D3D8400B 18000107
	v_accvgpr_read_b32 v12, a12                                // 000000006944: D3D8400C 1800010C
	v_accvgpr_read_b32 v13, a13                                // 00000000694C: D3D8400D 1800010D
	v_accvgpr_read_b32 v14, a14                                // 000000006954: D3D8400E 1800010E
	v_accvgpr_read_b32 v15, a15                                // 00000000695C: D3D8400F 1800010F
	v_cvt_pk_bf16_f32 v16, v8, v9                              // 000000006964: D2680010 00021308
	v_cvt_pk_bf16_f32 v17, v10, v11                            // 00000000696C: D2680011 0002170A
	v_cvt_pk_bf16_f32 v18, v12, v13                            // 000000006974: D2680012 00021B0C
	v_cvt_pk_bf16_f32 v19, v14, v15                            // 00000000697C: D2680013 00021F0E
	s_nop 1                                                    // 000000006984: BF800001
	v_permlane16_swap_b32_e32 v16, v18                         // 000000006988: 7E20B312
	s_nop 1                                                    // 00000000698C: BF800001
	v_permlane16_swap_b32_e32 v17, v19                         // 000000006990: 7E22B313
	s_nop 1                                                    // 000000006994: BF800001
	buffer_store_dwordx4 v[16:19], v227, s[4:7], 0 offen       // 000000006998: E07C1000 800110E3
	v_add_u32_e32 v227, s62, v227                              // 0000000069A0: 69C7C63E
	s_cmp_lt_i32 s60, s44                                      // 0000000069A4: BF042C3C
	s_cbranch_scc0 label_1106                                  // 0000000069A8: BF84019B
	s_addk_i32 s60, 0x20                                       // 0000000069AC: B73C0020
	v_add_u32_e32 v227, 64, v223                               // 0000000069B0: 69C7BEC0
	v_accvgpr_read_b32 v8, a16                                 // 0000000069B4: D3D84008 18000110
	v_accvgpr_read_b32 v9, a17                                 // 0000000069BC: D3D84009 18000111
	v_accvgpr_read_b32 v10, a18                                // 0000000069C4: D3D8400A 18000112
	v_accvgpr_read_b32 v11, a19                                // 0000000069CC: D3D8400B 18000113
	v_accvgpr_read_b32 v12, a24                                // 0000000069D4: D3D8400C 18000118
	v_accvgpr_read_b32 v13, a25                                // 0000000069DC: D3D8400D 18000119
	v_accvgpr_read_b32 v14, a26                                // 0000000069E4: D3D8400E 1800011A
	v_accvgpr_read_b32 v15, a27                                // 0000000069EC: D3D8400F 1800011B
	v_cvt_pk_bf16_f32 v16, v8, v9                              // 0000000069F4: D2680010 00021308
	v_cvt_pk_bf16_f32 v17, v10, v11                            // 0000000069FC: D2680011 0002170A
	v_cvt_pk_bf16_f32 v18, v12, v13                            // 000000006A04: D2680012 00021B0C
	v_cvt_pk_bf16_f32 v19, v14, v15                            // 000000006A0C: D2680013 00021F0E
	s_nop 1                                                    // 000000006A14: BF800001
	v_permlane16_swap_b32_e32 v16, v18                         // 000000006A18: 7E20B312
	s_nop 1                                                    // 000000006A1C: BF800001
	v_permlane16_swap_b32_e32 v17, v19                         // 000000006A20: 7E22B313
	s_nop 1                                                    // 000000006A24: BF800001
	buffer_store_dwordx4 v[16:19], v227, s[4:7], 0 offen       // 000000006A28: E07C1000 800110E3
	v_add_u32_e32 v227, s62, v227                              // 000000006A30: 69C7C63E
	v_accvgpr_read_b32 v8, a20                                 // 000000006A34: D3D84008 18000114
	v_accvgpr_read_b32 v9, a21                                 // 000000006A3C: D3D84009 18000115
	v_accvgpr_read_b32 v10, a22                                // 000000006A44: D3D8400A 18000116
	v_accvgpr_read_b32 v11, a23                                // 000000006A4C: D3D8400B 18000117
	v_accvgpr_read_b32 v12, a28                                // 000000006A54: D3D8400C 1800011C
	v_accvgpr_read_b32 v13, a29                                // 000000006A5C: D3D8400D 1800011D
	v_accvgpr_read_b32 v14, a30                                // 000000006A64: D3D8400E 1800011E
	v_accvgpr_read_b32 v15, a31                                // 000000006A6C: D3D8400F 1800011F
	v_cvt_pk_bf16_f32 v16, v8, v9                              // 000000006A74: D2680010 00021308
	v_cvt_pk_bf16_f32 v17, v10, v11                            // 000000006A7C: D2680011 0002170A
	v_cvt_pk_bf16_f32 v18, v12, v13                            // 000000006A84: D2680012 00021B0C
	v_cvt_pk_bf16_f32 v19, v14, v15                            // 000000006A8C: D2680013 00021F0E
	s_nop 1                                                    // 000000006A94: BF800001
	v_permlane16_swap_b32_e32 v16, v18                         // 000000006A98: 7E20B312
	s_nop 1                                                    // 000000006A9C: BF800001
	v_permlane16_swap_b32_e32 v17, v19                         // 000000006AA0: 7E22B313
	s_nop 1                                                    // 000000006AA4: BF800001
	buffer_store_dwordx4 v[16:19], v227, s[4:7], 0 offen       // 000000006AA8: E07C1000 800110E3
	v_add_u32_e32 v227, s62, v227                              // 000000006AB0: 69C7C63E
	s_cmp_lt_i32 s60, s44                                      // 000000006AB4: BF042C3C
	s_cbranch_scc0 label_1106                                  // 000000006AB8: BF840157
	s_addk_i32 s60, 0x20                                       // 000000006ABC: B73C0020
	v_add_u32_e32 v227, 0x80, v223                             // 000000006AC0: 69C7BEFF 00000080
	v_accvgpr_read_b32 v8, a32                                 // 000000006AC8: D3D84008 18000120
	v_accvgpr_read_b32 v9, a33                                 // 000000006AD0: D3D84009 18000121
	v_accvgpr_read_b32 v10, a34                                // 000000006AD8: D3D8400A 18000122
	v_accvgpr_read_b32 v11, a35                                // 000000006AE0: D3D8400B 18000123
	v_accvgpr_read_b32 v12, a40                                // 000000006AE8: D3D8400C 18000128
	v_accvgpr_read_b32 v13, a41                                // 000000006AF0: D3D8400D 18000129
	v_accvgpr_read_b32 v14, a42                                // 000000006AF8: D3D8400E 1800012A
	v_accvgpr_read_b32 v15, a43                                // 000000006B00: D3D8400F 1800012B
	v_cvt_pk_bf16_f32 v16, v8, v9                              // 000000006B08: D2680010 00021308
	v_cvt_pk_bf16_f32 v17, v10, v11                            // 000000006B10: D2680011 0002170A
	v_cvt_pk_bf16_f32 v18, v12, v13                            // 000000006B18: D2680012 00021B0C
	v_cvt_pk_bf16_f32 v19, v14, v15                            // 000000006B20: D2680013 00021F0E
	s_nop 1                                                    // 000000006B28: BF800001
	v_permlane16_swap_b32_e32 v16, v18                         // 000000006B2C: 7E20B312
	s_nop 1                                                    // 000000006B30: BF800001
	v_permlane16_swap_b32_e32 v17, v19                         // 000000006B34: 7E22B313
	s_nop 1                                                    // 000000006B38: BF800001
	buffer_store_dwordx4 v[16:19], v227, s[4:7], 0 offen       // 000000006B3C: E07C1000 800110E3
	v_add_u32_e32 v227, s62, v227                              // 000000006B44: 69C7C63E
	v_accvgpr_read_b32 v8, a36                                 // 000000006B48: D3D84008 18000124
	v_accvgpr_read_b32 v9, a37                                 // 000000006B50: D3D84009 18000125
	v_accvgpr_read_b32 v10, a38                                // 000000006B58: D3D8400A 18000126
	v_accvgpr_read_b32 v11, a39                                // 000000006B60: D3D8400B 18000127
	v_accvgpr_read_b32 v12, a44                                // 000000006B68: D3D8400C 1800012C
	v_accvgpr_read_b32 v13, a45                                // 000000006B70: D3D8400D 1800012D
	v_accvgpr_read_b32 v14, a46                                // 000000006B78: D3D8400E 1800012E
	v_accvgpr_read_b32 v15, a47                                // 000000006B80: D3D8400F 1800012F
	v_cvt_pk_bf16_f32 v16, v8, v9                              // 000000006B88: D2680010 00021308
	v_cvt_pk_bf16_f32 v17, v10, v11                            // 000000006B90: D2680011 0002170A
	v_cvt_pk_bf16_f32 v18, v12, v13                            // 000000006B98: D2680012 00021B0C
	v_cvt_pk_bf16_f32 v19, v14, v15                            // 000000006BA0: D2680013 00021F0E
	s_nop 1                                                    // 000000006BA8: BF800001
	v_permlane16_swap_b32_e32 v16, v18                         // 000000006BAC: 7E20B312
	s_nop 1                                                    // 000000006BB0: BF800001
	v_permlane16_swap_b32_e32 v17, v19                         // 000000006BB4: 7E22B313
	s_nop 1                                                    // 000000006BB8: BF800001
	buffer_store_dwordx4 v[16:19], v227, s[4:7], 0 offen       // 000000006BBC: E07C1000 800110E3
	v_add_u32_e32 v227, s62, v227                              // 000000006BC4: 69C7C63E
	s_cmp_lt_i32 s60, s44                                      // 000000006BC8: BF042C3C
	s_cbranch_scc0 label_1106                                  // 000000006BCC: BF840112
	s_addk_i32 s60, 0x20                                       // 000000006BD0: B73C0020
	v_add_u32_e32 v227, 0xc0, v223                             // 000000006BD4: 69C7BEFF 000000C0
	v_accvgpr_read_b32 v8, a48                                 // 000000006BDC: D3D84008 18000130
	v_accvgpr_read_b32 v9, a49                                 // 000000006BE4: D3D84009 18000131
	v_accvgpr_read_b32 v10, a50                                // 000000006BEC: D3D8400A 18000132
	v_accvgpr_read_b32 v11, a51                                // 000000006BF4: D3D8400B 18000133
	v_accvgpr_read_b32 v12, a56                                // 000000006BFC: D3D8400C 18000138
	v_accvgpr_read_b32 v13, a57                                // 000000006C04: D3D8400D 18000139
	v_accvgpr_read_b32 v14, a58                                // 000000006C0C: D3D8400E 1800013A
	v_accvgpr_read_b32 v15, a59                                // 000000006C14: D3D8400F 1800013B
	v_cvt_pk_bf16_f32 v16, v8, v9                              // 000000006C1C: D2680010 00021308
	v_cvt_pk_bf16_f32 v17, v10, v11                            // 000000006C24: D2680011 0002170A
	v_cvt_pk_bf16_f32 v18, v12, v13                            // 000000006C2C: D2680012 00021B0C
	v_cvt_pk_bf16_f32 v19, v14, v15                            // 000000006C34: D2680013 00021F0E
	s_nop 1                                                    // 000000006C3C: BF800001
	v_permlane16_swap_b32_e32 v16, v18                         // 000000006C40: 7E20B312
	s_nop 1                                                    // 000000006C44: BF800001
	v_permlane16_swap_b32_e32 v17, v19                         // 000000006C48: 7E22B313
	s_nop 1                                                    // 000000006C4C: BF800001
	buffer_store_dwordx4 v[16:19], v227, s[4:7], 0 offen       // 000000006C50: E07C1000 800110E3
	v_add_u32_e32 v227, s62, v227                              // 000000006C58: 69C7C63E
	v_accvgpr_read_b32 v8, a52                                 // 000000006C5C: D3D84008 18000134
	v_accvgpr_read_b32 v9, a53                                 // 000000006C64: D3D84009 18000135
	v_accvgpr_read_b32 v10, a54                                // 000000006C6C: D3D8400A 18000136
	v_accvgpr_read_b32 v11, a55                                // 000000006C74: D3D8400B 18000137
	v_accvgpr_read_b32 v12, a60                                // 000000006C7C: D3D8400C 1800013C
	v_accvgpr_read_b32 v13, a61                                // 000000006C84: D3D8400D 1800013D
	v_accvgpr_read_b32 v14, a62                                // 000000006C8C: D3D8400E 1800013E
	v_accvgpr_read_b32 v15, a63                                // 000000006C94: D3D8400F 1800013F
	v_cvt_pk_bf16_f32 v16, v8, v9                              // 000000006C9C: D2680010 00021308
	v_cvt_pk_bf16_f32 v17, v10, v11                            // 000000006CA4: D2680011 0002170A
	v_cvt_pk_bf16_f32 v18, v12, v13                            // 000000006CAC: D2680012 00021B0C
	v_cvt_pk_bf16_f32 v19, v14, v15                            // 000000006CB4: D2680013 00021F0E
	s_nop 1                                                    // 000000006CBC: BF800001
	v_permlane16_swap_b32_e32 v16, v18                         // 000000006CC0: 7E20B312
	s_nop 1                                                    // 000000006CC4: BF800001
	v_permlane16_swap_b32_e32 v17, v19                         // 000000006CC8: 7E22B313
	s_nop 1                                                    // 000000006CCC: BF800001
	buffer_store_dwordx4 v[16:19], v227, s[4:7], 0 offen       // 000000006CD0: E07C1000 800110E3
	v_add_u32_e32 v227, s62, v227                              // 000000006CD8: 69C7C63E
	s_cmp_lt_i32 s60, s44                                      // 000000006CDC: BF042C3C
	s_cbranch_scc0 label_1106                                  // 000000006CE0: BF8400CD
	s_addk_i32 s60, 0x20                                       // 000000006CE4: B73C0020
	v_add_u32_e32 v227, 0x100, v223                            // 000000006CE8: 69C7BEFF 00000100
	v_accvgpr_read_b32 v8, a64                                 // 000000006CF0: D3D84008 18000140
	v_accvgpr_read_b32 v9, a65                                 // 000000006CF8: D3D84009 18000141
	v_accvgpr_read_b32 v10, a66                                // 000000006D00: D3D8400A 18000142
	v_accvgpr_read_b32 v11, a67                                // 000000006D08: D3D8400B 18000143
	v_accvgpr_read_b32 v12, a72                                // 000000006D10: D3D8400C 18000148
	v_accvgpr_read_b32 v13, a73                                // 000000006D18: D3D8400D 18000149
	v_accvgpr_read_b32 v14, a74                                // 000000006D20: D3D8400E 1800014A
	v_accvgpr_read_b32 v15, a75                                // 000000006D28: D3D8400F 1800014B
	v_cvt_pk_bf16_f32 v16, v8, v9                              // 000000006D30: D2680010 00021308
	v_cvt_pk_bf16_f32 v17, v10, v11                            // 000000006D38: D2680011 0002170A
	v_cvt_pk_bf16_f32 v18, v12, v13                            // 000000006D40: D2680012 00021B0C
	v_cvt_pk_bf16_f32 v19, v14, v15                            // 000000006D48: D2680013 00021F0E
	s_nop 1                                                    // 000000006D50: BF800001
	v_permlane16_swap_b32_e32 v16, v18                         // 000000006D54: 7E20B312
	s_nop 1                                                    // 000000006D58: BF800001
	v_permlane16_swap_b32_e32 v17, v19                         // 000000006D5C: 7E22B313
	s_nop 1                                                    // 000000006D60: BF800001
	buffer_store_dwordx4 v[16:19], v227, s[4:7], 0 offen       // 000000006D64: E07C1000 800110E3
	v_add_u32_e32 v227, s62, v227                              // 000000006D6C: 69C7C63E
	v_accvgpr_read_b32 v8, a68                                 // 000000006D70: D3D84008 18000144
	v_accvgpr_read_b32 v9, a69                                 // 000000006D78: D3D84009 18000145
	v_accvgpr_read_b32 v10, a70                                // 000000006D80: D3D8400A 18000146
	v_accvgpr_read_b32 v11, a71                                // 000000006D88: D3D8400B 18000147
	v_accvgpr_read_b32 v12, a76                                // 000000006D90: D3D8400C 1800014C
	v_accvgpr_read_b32 v13, a77                                // 000000006D98: D3D8400D 1800014D
	v_accvgpr_read_b32 v14, a78                                // 000000006DA0: D3D8400E 1800014E
	v_accvgpr_read_b32 v15, a79                                // 000000006DA8: D3D8400F 1800014F
	v_cvt_pk_bf16_f32 v16, v8, v9                              // 000000006DB0: D2680010 00021308
	v_cvt_pk_bf16_f32 v17, v10, v11                            // 000000006DB8: D2680011 0002170A
	v_cvt_pk_bf16_f32 v18, v12, v13                            // 000000006DC0: D2680012 00021B0C
	v_cvt_pk_bf16_f32 v19, v14, v15                            // 000000006DC8: D2680013 00021F0E
	s_nop 1                                                    // 000000006DD0: BF800001
	v_permlane16_swap_b32_e32 v16, v18                         // 000000006DD4: 7E20B312
	s_nop 1                                                    // 000000006DD8: BF800001
	v_permlane16_swap_b32_e32 v17, v19                         // 000000006DDC: 7E22B313
	s_nop 1                                                    // 000000006DE0: BF800001
	buffer_store_dwordx4 v[16:19], v227, s[4:7], 0 offen       // 000000006DE4: E07C1000 800110E3
	v_add_u32_e32 v227, s62, v227                              // 000000006DEC: 69C7C63E
	s_cmp_lt_i32 s60, s44                                      // 000000006DF0: BF042C3C
	s_cbranch_scc0 label_1106                                  // 000000006DF4: BF840088
	s_addk_i32 s60, 0x20                                       // 000000006DF8: B73C0020
	v_add_u32_e32 v227, 0x140, v223                            // 000000006DFC: 69C7BEFF 00000140
	v_accvgpr_read_b32 v8, a80                                 // 000000006E04: D3D84008 18000150
	v_accvgpr_read_b32 v9, a81                                 // 000000006E0C: D3D84009 18000151
	v_accvgpr_read_b32 v10, a82                                // 000000006E14: D3D8400A 18000152
	v_accvgpr_read_b32 v11, a83                                // 000000006E1C: D3D8400B 18000153
	v_accvgpr_read_b32 v12, a88                                // 000000006E24: D3D8400C 18000158
	v_accvgpr_read_b32 v13, a89                                // 000000006E2C: D3D8400D 18000159
	v_accvgpr_read_b32 v14, a90                                // 000000006E34: D3D8400E 1800015A
	v_accvgpr_read_b32 v15, a91                                // 000000006E3C: D3D8400F 1800015B
	v_cvt_pk_bf16_f32 v16, v8, v9                              // 000000006E44: D2680010 00021308
	v_cvt_pk_bf16_f32 v17, v10, v11                            // 000000006E4C: D2680011 0002170A
	v_cvt_pk_bf16_f32 v18, v12, v13                            // 000000006E54: D2680012 00021B0C
	v_cvt_pk_bf16_f32 v19, v14, v15                            // 000000006E5C: D2680013 00021F0E
	s_nop 1                                                    // 000000006E64: BF800001
	v_permlane16_swap_b32_e32 v16, v18                         // 000000006E68: 7E20B312
	s_nop 1                                                    // 000000006E6C: BF800001
	v_permlane16_swap_b32_e32 v17, v19                         // 000000006E70: 7E22B313
	s_nop 1                                                    // 000000006E74: BF800001
	buffer_store_dwordx4 v[16:19], v227, s[4:7], 0 offen       // 000000006E78: E07C1000 800110E3
	v_add_u32_e32 v227, s62, v227                              // 000000006E80: 69C7C63E
	v_accvgpr_read_b32 v8, a84                                 // 000000006E84: D3D84008 18000154
	v_accvgpr_read_b32 v9, a85                                 // 000000006E8C: D3D84009 18000155
	v_accvgpr_read_b32 v10, a86                                // 000000006E94: D3D8400A 18000156
	v_accvgpr_read_b32 v11, a87                                // 000000006E9C: D3D8400B 18000157
	v_accvgpr_read_b32 v12, a92                                // 000000006EA4: D3D8400C 1800015C
	v_accvgpr_read_b32 v13, a93                                // 000000006EAC: D3D8400D 1800015D
	v_accvgpr_read_b32 v14, a94                                // 000000006EB4: D3D8400E 1800015E
	v_accvgpr_read_b32 v15, a95                                // 000000006EBC: D3D8400F 1800015F
	v_cvt_pk_bf16_f32 v16, v8, v9                              // 000000006EC4: D2680010 00021308
	v_cvt_pk_bf16_f32 v17, v10, v11                            // 000000006ECC: D2680011 0002170A
	v_cvt_pk_bf16_f32 v18, v12, v13                            // 000000006ED4: D2680012 00021B0C
	v_cvt_pk_bf16_f32 v19, v14, v15                            // 000000006EDC: D2680013 00021F0E
	s_nop 1                                                    // 000000006EE4: BF800001
	v_permlane16_swap_b32_e32 v16, v18                         // 000000006EE8: 7E20B312
	s_nop 1                                                    // 000000006EEC: BF800001
	v_permlane16_swap_b32_e32 v17, v19                         // 000000006EF0: 7E22B313
	s_nop 1                                                    // 000000006EF4: BF800001
	buffer_store_dwordx4 v[16:19], v227, s[4:7], 0 offen       // 000000006EF8: E07C1000 800110E3
	v_add_u32_e32 v227, s62, v227                              // 000000006F00: 69C7C63E
	s_cmp_lt_i32 s60, s44                                      // 000000006F04: BF042C3C
	s_cbranch_scc0 label_1106                                  // 000000006F08: BF840043
	s_addk_i32 s60, 0x20                                       // 000000006F0C: B73C0020
	v_add_u32_e32 v227, 0x180, v223                            // 000000006F10: 69C7BEFF 00000180
	v_accvgpr_read_b32 v8, a96                                 // 000000006F18: D3D84008 18000160
	v_accvgpr_read_b32 v9, a97                                 // 000000006F20: D3D84009 18000161
	v_accvgpr_read_b32 v10, a98                                // 000000006F28: D3D8400A 18000162
	v_accvgpr_read_b32 v11, a99                                // 000000006F30: D3D8400B 18000163
	v_accvgpr_read_b32 v12, a104                               // 000000006F38: D3D8400C 18000168
	v_accvgpr_read_b32 v13, a105                               // 000000006F40: D3D8400D 18000169
	v_accvgpr_read_b32 v14, a106                               // 000000006F48: D3D8400E 1800016A
	v_accvgpr_read_b32 v15, a107                               // 000000006F50: D3D8400F 1800016B
	v_cvt_pk_bf16_f32 v16, v8, v9                              // 000000006F58: D2680010 00021308
	v_cvt_pk_bf16_f32 v17, v10, v11                            // 000000006F60: D2680011 0002170A
	v_cvt_pk_bf16_f32 v18, v12, v13                            // 000000006F68: D2680012 00021B0C
	v_cvt_pk_bf16_f32 v19, v14, v15                            // 000000006F70: D2680013 00021F0E
	s_nop 1                                                    // 000000006F78: BF800001
	v_permlane16_swap_b32_e32 v16, v18                         // 000000006F7C: 7E20B312
	s_nop 1                                                    // 000000006F80: BF800001
	v_permlane16_swap_b32_e32 v17, v19                         // 000000006F84: 7E22B313
	s_nop 1                                                    // 000000006F88: BF800001
	buffer_store_dwordx4 v[16:19], v227, s[4:7], 0 offen       // 000000006F8C: E07C1000 800110E3
	v_add_u32_e32 v227, s62, v227                              // 000000006F94: 69C7C63E
	v_accvgpr_read_b32 v8, a100                                // 000000006F98: D3D84008 18000164
	v_accvgpr_read_b32 v9, a101                                // 000000006FA0: D3D84009 18000165
	v_accvgpr_read_b32 v10, a102                               // 000000006FA8: D3D8400A 18000166
	v_accvgpr_read_b32 v11, a103                               // 000000006FB0: D3D8400B 18000167
	v_accvgpr_read_b32 v12, a108                               // 000000006FB8: D3D8400C 1800016C
	v_accvgpr_read_b32 v13, a109                               // 000000006FC0: D3D8400D 1800016D
	v_accvgpr_read_b32 v14, a110                               // 000000006FC8: D3D8400E 1800016E
	v_accvgpr_read_b32 v15, a111                               // 000000006FD0: D3D8400F 1800016F
	v_cvt_pk_bf16_f32 v16, v8, v9                              // 000000006FD8: D2680010 00021308
	v_cvt_pk_bf16_f32 v17, v10, v11                            // 000000006FE0: D2680011 0002170A
	v_cvt_pk_bf16_f32 v18, v12, v13                            // 000000006FE8: D2680012 00021B0C
	v_cvt_pk_bf16_f32 v19, v14, v15                            // 000000006FF0: D2680013 00021F0E
	s_nop 1                                                    // 000000006FF8: BF800001
	v_permlane16_swap_b32_e32 v16, v18                         // 000000006FFC: 7E20B312
	s_nop 1                                                    // 000000007000: BF800001
	v_permlane16_swap_b32_e32 v17, v19                         // 000000007004: 7E22B313
	s_nop 1                                                    // 000000007008: BF800001
	buffer_store_dwordx4 v[16:19], v227, s[4:7], 0 offen       // 00000000700C: E07C1000 800110E3
	v_add_u32_e32 v227, s62, v227                              // 000000007014: 69C7C63E

0000000000007018 <label_1106>:
	s_waitcnt vmcnt(0) expcnt(0) lgkmcnt(0)                    // 000000007018: BF8C0000
	s_endpgm                                                   // 00000000701C: BF810000
